;; amdgpu-corpus repo=ROCm/rocSPARSE kind=compiled arch=gfx906 opt=O3
	.amdgcn_target "amdgcn-amd-amdhsa--gfx906"
	.amdhsa_code_object_version 6
	.section	.text._ZN9rocsparseL35gtsv_nopivot_pcr_pow2_shared_kernelILj2EfEEviiiPKT0_S3_S3_PS1_,"axG",@progbits,_ZN9rocsparseL35gtsv_nopivot_pcr_pow2_shared_kernelILj2EfEEviiiPKT0_S3_S3_PS1_,comdat
	.globl	_ZN9rocsparseL35gtsv_nopivot_pcr_pow2_shared_kernelILj2EfEEviiiPKT0_S3_S3_PS1_ ; -- Begin function _ZN9rocsparseL35gtsv_nopivot_pcr_pow2_shared_kernelILj2EfEEviiiPKT0_S3_S3_PS1_
	.p2align	8
	.type	_ZN9rocsparseL35gtsv_nopivot_pcr_pow2_shared_kernelILj2EfEEviiiPKT0_S3_S3_PS1_,@function
_ZN9rocsparseL35gtsv_nopivot_pcr_pow2_shared_kernelILj2EfEEviiiPKT0_S3_S3_PS1_: ; @_ZN9rocsparseL35gtsv_nopivot_pcr_pow2_shared_kernelILj2EfEEviiiPKT0_S3_S3_PS1_
; %bb.0:
	s_load_dwordx8 s[8:15], s[4:5], 0x10
	s_load_dword s0, s[4:5], 0x8
	v_mov_b32_e32 v3, 0
	v_lshlrev_b32_e32 v4, 2, v0
	s_waitcnt lgkmcnt(0)
	global_load_dword v5, v4, s[8:9]
	global_load_dword v6, v4, s[10:11]
	global_load_dword v7, v4, s[12:13]
	s_mul_i32 s0, s0, s6
	v_add_u32_e32 v2, s0, v0
	v_lshlrev_b64 v[1:2], 2, v[2:3]
	v_mov_b32_e32 v8, s15
	v_add_co_u32_e32 v1, vcc, s14, v1
	v_addc_co_u32_e32 v2, vcc, v8, v2, vcc
	global_load_dword v8, v[1:2], off
	v_cmp_eq_u32_e32 vcc, 0, v0
	s_waitcnt vmcnt(2)
	ds_write2_b32 v4, v5, v6 offset1:4
	s_waitcnt vmcnt(0)
	ds_write2_b32 v4, v7, v8 offset0:8 offset1:16
	s_waitcnt lgkmcnt(0)
	; wave barrier
	s_and_saveexec_b64 s[0:1], vcc
	s_cbranch_execz .LBB0_2
; %bb.1:
	v_or_b32_e32 v0, 16, v4
	v_or_b32_e32 v7, 32, v4
	ds_read2_b32 v[5:6], v3 offset0:1 offset1:5
	ds_read_b32 v7, v7
	ds_read_b32 v0, v0
	v_or_b32_e32 v8, 64, v4
	ds_read_b32 v8, v8
	ds_read_b32 v9, v3 offset:68
	s_waitcnt lgkmcnt(3)
	v_mul_f32_e32 v10, v7, v5
	s_waitcnt lgkmcnt(2)
	v_fma_f32 v10, v6, v0, -v10
	v_div_scale_f32 v11, s[2:3], v10, v10, 1.0
	v_div_scale_f32 v12, vcc, 1.0, v10, 1.0
	s_waitcnt lgkmcnt(0)
	v_mul_f32_e32 v7, v7, v9
	v_mul_f32_e32 v5, v5, v8
	v_fma_f32 v6, v6, v8, -v7
	v_fma_f32 v0, v0, v9, -v5
	v_rcp_f32_e32 v13, v11
	v_fma_f32 v14, -v11, v13, 1.0
	v_fmac_f32_e32 v13, v14, v13
	v_mul_f32_e32 v14, v12, v13
	v_fma_f32 v15, -v11, v14, v12
	v_fmac_f32_e32 v14, v15, v13
	v_fma_f32 v11, -v11, v14, v12
	v_div_fmas_f32 v11, v11, v13, v14
	v_div_fixup_f32 v7, v11, v10, 1.0
	v_mul_f32_e32 v5, v7, v6
	v_mul_f32_e32 v6, v7, v0
	ds_write_b64 v3, v[5:6] offset:48
.LBB0_2:
	s_or_b64 exec, exec, s[0:1]
	s_waitcnt lgkmcnt(0)
	; wave barrier
	ds_read_b32 v0, v4 offset:48
	s_waitcnt lgkmcnt(0)
	global_store_dword v[1:2], v0, off
	s_endpgm
	.section	.rodata,"a",@progbits
	.p2align	6, 0x0
	.amdhsa_kernel _ZN9rocsparseL35gtsv_nopivot_pcr_pow2_shared_kernelILj2EfEEviiiPKT0_S3_S3_PS1_
		.amdhsa_group_segment_fixed_size 76
		.amdhsa_private_segment_fixed_size 0
		.amdhsa_kernarg_size 48
		.amdhsa_user_sgpr_count 6
		.amdhsa_user_sgpr_private_segment_buffer 1
		.amdhsa_user_sgpr_dispatch_ptr 0
		.amdhsa_user_sgpr_queue_ptr 0
		.amdhsa_user_sgpr_kernarg_segment_ptr 1
		.amdhsa_user_sgpr_dispatch_id 0
		.amdhsa_user_sgpr_flat_scratch_init 0
		.amdhsa_user_sgpr_private_segment_size 0
		.amdhsa_uses_dynamic_stack 0
		.amdhsa_system_sgpr_private_segment_wavefront_offset 0
		.amdhsa_system_sgpr_workgroup_id_x 1
		.amdhsa_system_sgpr_workgroup_id_y 0
		.amdhsa_system_sgpr_workgroup_id_z 0
		.amdhsa_system_sgpr_workgroup_info 0
		.amdhsa_system_vgpr_workitem_id 0
		.amdhsa_next_free_vgpr 16
		.amdhsa_next_free_sgpr 16
		.amdhsa_reserve_vcc 1
		.amdhsa_reserve_flat_scratch 0
		.amdhsa_float_round_mode_32 0
		.amdhsa_float_round_mode_16_64 0
		.amdhsa_float_denorm_mode_32 3
		.amdhsa_float_denorm_mode_16_64 3
		.amdhsa_dx10_clamp 1
		.amdhsa_ieee_mode 1
		.amdhsa_fp16_overflow 0
		.amdhsa_exception_fp_ieee_invalid_op 0
		.amdhsa_exception_fp_denorm_src 0
		.amdhsa_exception_fp_ieee_div_zero 0
		.amdhsa_exception_fp_ieee_overflow 0
		.amdhsa_exception_fp_ieee_underflow 0
		.amdhsa_exception_fp_ieee_inexact 0
		.amdhsa_exception_int_div_zero 0
	.end_amdhsa_kernel
	.section	.text._ZN9rocsparseL35gtsv_nopivot_pcr_pow2_shared_kernelILj2EfEEviiiPKT0_S3_S3_PS1_,"axG",@progbits,_ZN9rocsparseL35gtsv_nopivot_pcr_pow2_shared_kernelILj2EfEEviiiPKT0_S3_S3_PS1_,comdat
.Lfunc_end0:
	.size	_ZN9rocsparseL35gtsv_nopivot_pcr_pow2_shared_kernelILj2EfEEviiiPKT0_S3_S3_PS1_, .Lfunc_end0-_ZN9rocsparseL35gtsv_nopivot_pcr_pow2_shared_kernelILj2EfEEviiiPKT0_S3_S3_PS1_
                                        ; -- End function
	.set _ZN9rocsparseL35gtsv_nopivot_pcr_pow2_shared_kernelILj2EfEEviiiPKT0_S3_S3_PS1_.num_vgpr, 16
	.set _ZN9rocsparseL35gtsv_nopivot_pcr_pow2_shared_kernelILj2EfEEviiiPKT0_S3_S3_PS1_.num_agpr, 0
	.set _ZN9rocsparseL35gtsv_nopivot_pcr_pow2_shared_kernelILj2EfEEviiiPKT0_S3_S3_PS1_.numbered_sgpr, 16
	.set _ZN9rocsparseL35gtsv_nopivot_pcr_pow2_shared_kernelILj2EfEEviiiPKT0_S3_S3_PS1_.num_named_barrier, 0
	.set _ZN9rocsparseL35gtsv_nopivot_pcr_pow2_shared_kernelILj2EfEEviiiPKT0_S3_S3_PS1_.private_seg_size, 0
	.set _ZN9rocsparseL35gtsv_nopivot_pcr_pow2_shared_kernelILj2EfEEviiiPKT0_S3_S3_PS1_.uses_vcc, 1
	.set _ZN9rocsparseL35gtsv_nopivot_pcr_pow2_shared_kernelILj2EfEEviiiPKT0_S3_S3_PS1_.uses_flat_scratch, 0
	.set _ZN9rocsparseL35gtsv_nopivot_pcr_pow2_shared_kernelILj2EfEEviiiPKT0_S3_S3_PS1_.has_dyn_sized_stack, 0
	.set _ZN9rocsparseL35gtsv_nopivot_pcr_pow2_shared_kernelILj2EfEEviiiPKT0_S3_S3_PS1_.has_recursion, 0
	.set _ZN9rocsparseL35gtsv_nopivot_pcr_pow2_shared_kernelILj2EfEEviiiPKT0_S3_S3_PS1_.has_indirect_call, 0
	.section	.AMDGPU.csdata,"",@progbits
; Kernel info:
; codeLenInByte = 348
; TotalNumSgprs: 20
; NumVgprs: 16
; ScratchSize: 0
; MemoryBound: 0
; FloatMode: 240
; IeeeMode: 1
; LDSByteSize: 76 bytes/workgroup (compile time only)
; SGPRBlocks: 2
; VGPRBlocks: 3
; NumSGPRsForWavesPerEU: 20
; NumVGPRsForWavesPerEU: 16
; Occupancy: 10
; WaveLimiterHint : 0
; COMPUTE_PGM_RSRC2:SCRATCH_EN: 0
; COMPUTE_PGM_RSRC2:USER_SGPR: 6
; COMPUTE_PGM_RSRC2:TRAP_HANDLER: 0
; COMPUTE_PGM_RSRC2:TGID_X_EN: 1
; COMPUTE_PGM_RSRC2:TGID_Y_EN: 0
; COMPUTE_PGM_RSRC2:TGID_Z_EN: 0
; COMPUTE_PGM_RSRC2:TIDIG_COMP_CNT: 0
	.section	.text._ZN9rocsparseL35gtsv_nopivot_pcr_pow2_shared_kernelILj4EfEEviiiPKT0_S3_S3_PS1_,"axG",@progbits,_ZN9rocsparseL35gtsv_nopivot_pcr_pow2_shared_kernelILj4EfEEviiiPKT0_S3_S3_PS1_,comdat
	.globl	_ZN9rocsparseL35gtsv_nopivot_pcr_pow2_shared_kernelILj4EfEEviiiPKT0_S3_S3_PS1_ ; -- Begin function _ZN9rocsparseL35gtsv_nopivot_pcr_pow2_shared_kernelILj4EfEEviiiPKT0_S3_S3_PS1_
	.p2align	8
	.type	_ZN9rocsparseL35gtsv_nopivot_pcr_pow2_shared_kernelILj4EfEEviiiPKT0_S3_S3_PS1_,@function
_ZN9rocsparseL35gtsv_nopivot_pcr_pow2_shared_kernelILj4EfEEviiiPKT0_S3_S3_PS1_: ; @_ZN9rocsparseL35gtsv_nopivot_pcr_pow2_shared_kernelILj4EfEEviiiPKT0_S3_S3_PS1_
; %bb.0:
	s_load_dwordx8 s[8:15], s[4:5], 0x10
	s_load_dword s0, s[4:5], 0x8
	v_mov_b32_e32 v2, 0
	v_lshlrev_b32_e32 v3, 2, v0
	v_sub_u32_e64 v9, v0, 1 clamp
	s_waitcnt lgkmcnt(0)
	v_mov_b32_e32 v7, s15
	s_mul_i32 s0, s0, s6
	v_add_u32_e32 v1, s0, v0
	v_lshlrev_b64 v[1:2], 2, v[1:2]
	global_load_dword v4, v3, s[8:9]
	global_load_dword v5, v3, s[10:11]
	;; [unrolled: 1-line block ×3, first 2 shown]
	v_add_co_u32_e32 v1, vcc, s14, v1
	v_addc_co_u32_e32 v2, vcc, v7, v2, vcc
	global_load_dword v7, v[1:2], off
	v_min_u32_e32 v8, 2, v0
	v_lshlrev_b32_e32 v12, 2, v9
	v_lshlrev_b32_e32 v14, 2, v8
	s_waitcnt vmcnt(2)
	ds_write2_b32 v3, v4, v5 offset1:8
	s_waitcnt vmcnt(0)
	ds_write2_b32 v3, v6, v7 offset0:16 offset1:32
	s_waitcnt lgkmcnt(0)
	; wave barrier
	ds_read2_b32 v[4:5], v12 offset1:8
	ds_read2_b32 v[6:7], v3 offset1:8
	ds_read2_b32 v[8:9], v3 offset0:16 offset1:32
	ds_read2_b32 v[10:11], v14 offset0:1 offset1:9
	s_waitcnt lgkmcnt(2)
	v_div_scale_f32 v13, s[0:1], v5, v5, v6
	s_waitcnt lgkmcnt(0)
	v_div_scale_f32 v15, s[0:1], v11, v11, v8
	v_div_scale_f32 v16, vcc, v6, v5, v6
	v_rcp_f32_e32 v17, v13
	v_rcp_f32_e32 v18, v15
	v_fma_f32 v19, -v13, v17, 1.0
	v_fmac_f32_e32 v17, v19, v17
	v_fma_f32 v19, -v15, v18, 1.0
	v_fmac_f32_e32 v18, v19, v18
	v_mul_f32_e32 v19, v16, v17
	v_fma_f32 v20, -v13, v19, v16
	v_fmac_f32_e32 v19, v20, v17
	v_div_scale_f32 v20, s[0:1], v8, v11, v8
	v_fma_f32 v13, -v13, v19, v16
	v_div_fmas_f32 v16, v13, v17, v19
	s_mov_b64 vcc, s[0:1]
	v_mul_f32_e32 v21, v20, v18
	v_fma_f32 v22, -v15, v21, v20
	v_fmac_f32_e32 v21, v22, v18
	v_fma_f32 v15, -v15, v21, v20
	v_div_fmas_f32 v17, v15, v18, v21
	ds_read2_b32 v[12:13], v12 offset0:16 offset1:32
	ds_read2_b32 v[14:15], v14 offset0:17 offset1:33
	v_div_fixup_f32 v5, v16, v5, v6
	v_mul_f32_e64 v4, v5, -v4
	v_cmp_gt_u32_e32 vcc, 2, v0
	s_waitcnt lgkmcnt(1)
	v_fma_f32 v7, -v5, v12, v7
	s_waitcnt lgkmcnt(0)
	; wave barrier
	v_div_fixup_f32 v6, v17, v11, v8
	v_fma_f32 v8, -v5, v13, v9
	v_fma_f32 v5, -v6, v10, v7
	;; [unrolled: 1-line block ×3, first 2 shown]
	v_mul_f32_e64 v6, v6, -v14
	ds_write2_b32 v3, v4, v5 offset1:8
	ds_write2_b32 v3, v6, v7 offset0:16 offset1:32
	s_waitcnt lgkmcnt(0)
	; wave barrier
	s_and_saveexec_b64 s[0:1], vcc
	s_cbranch_execz .LBB1_2
; %bb.1:
	v_or_b32_e32 v4, 64, v3
	v_or_b32_e32 v0, 32, v3
	ds_read_b32 v8, v4
	ds_read_b32 v9, v3 offset:8
	ds_read2_b32 v[4:5], v0 offset1:2
	s_waitcnt lgkmcnt(1)
	v_mul_f32_e32 v0, v8, v9
	s_waitcnt lgkmcnt(0)
	v_fma_f32 v0, v5, v4, -v0
	v_div_scale_f32 v6, s[2:3], v0, v0, 1.0
	v_div_scale_f32 v7, vcc, 1.0, v0, 1.0
	v_rcp_f32_e32 v10, v6
	v_fma_f32 v11, -v6, v10, 1.0
	v_fmac_f32_e32 v10, v11, v10
	v_mul_f32_e32 v11, v7, v10
	v_fma_f32 v12, -v6, v11, v7
	v_fmac_f32_e32 v11, v12, v10
	v_fma_f32 v6, -v6, v11, v7
	v_div_fmas_f32 v10, v6, v10, v11
	v_or_b32_e32 v6, 0x80, v3
	ds_read2_b32 v[6:7], v6 offset1:2
	s_waitcnt lgkmcnt(0)
	v_mul_f32_e32 v8, v8, v7
	v_mul_f32_e32 v9, v9, v6
	v_fma_f32 v5, v5, v6, -v8
	v_fma_f32 v4, v4, v7, -v9
	v_div_fixup_f32 v0, v10, v0, 1.0
	v_mul_f32_e32 v5, v0, v5
	v_mul_f32_e32 v0, v0, v4
	ds_write2_b32 v3, v5, v0 offset0:24 offset1:26
.LBB1_2:
	s_or_b64 exec, exec, s[0:1]
	s_waitcnt lgkmcnt(0)
	; wave barrier
	ds_read_b32 v0, v3 offset:96
	s_waitcnt lgkmcnt(0)
	global_store_dword v[1:2], v0, off
	s_endpgm
	.section	.rodata,"a",@progbits
	.p2align	6, 0x0
	.amdhsa_kernel _ZN9rocsparseL35gtsv_nopivot_pcr_pow2_shared_kernelILj4EfEEviiiPKT0_S3_S3_PS1_
		.amdhsa_group_segment_fixed_size 148
		.amdhsa_private_segment_fixed_size 0
		.amdhsa_kernarg_size 48
		.amdhsa_user_sgpr_count 6
		.amdhsa_user_sgpr_private_segment_buffer 1
		.amdhsa_user_sgpr_dispatch_ptr 0
		.amdhsa_user_sgpr_queue_ptr 0
		.amdhsa_user_sgpr_kernarg_segment_ptr 1
		.amdhsa_user_sgpr_dispatch_id 0
		.amdhsa_user_sgpr_flat_scratch_init 0
		.amdhsa_user_sgpr_private_segment_size 0
		.amdhsa_uses_dynamic_stack 0
		.amdhsa_system_sgpr_private_segment_wavefront_offset 0
		.amdhsa_system_sgpr_workgroup_id_x 1
		.amdhsa_system_sgpr_workgroup_id_y 0
		.amdhsa_system_sgpr_workgroup_id_z 0
		.amdhsa_system_sgpr_workgroup_info 0
		.amdhsa_system_vgpr_workitem_id 0
		.amdhsa_next_free_vgpr 23
		.amdhsa_next_free_sgpr 16
		.amdhsa_reserve_vcc 1
		.amdhsa_reserve_flat_scratch 0
		.amdhsa_float_round_mode_32 0
		.amdhsa_float_round_mode_16_64 0
		.amdhsa_float_denorm_mode_32 3
		.amdhsa_float_denorm_mode_16_64 3
		.amdhsa_dx10_clamp 1
		.amdhsa_ieee_mode 1
		.amdhsa_fp16_overflow 0
		.amdhsa_exception_fp_ieee_invalid_op 0
		.amdhsa_exception_fp_denorm_src 0
		.amdhsa_exception_fp_ieee_div_zero 0
		.amdhsa_exception_fp_ieee_overflow 0
		.amdhsa_exception_fp_ieee_underflow 0
		.amdhsa_exception_fp_ieee_inexact 0
		.amdhsa_exception_int_div_zero 0
	.end_amdhsa_kernel
	.section	.text._ZN9rocsparseL35gtsv_nopivot_pcr_pow2_shared_kernelILj4EfEEviiiPKT0_S3_S3_PS1_,"axG",@progbits,_ZN9rocsparseL35gtsv_nopivot_pcr_pow2_shared_kernelILj4EfEEviiiPKT0_S3_S3_PS1_,comdat
.Lfunc_end1:
	.size	_ZN9rocsparseL35gtsv_nopivot_pcr_pow2_shared_kernelILj4EfEEviiiPKT0_S3_S3_PS1_, .Lfunc_end1-_ZN9rocsparseL35gtsv_nopivot_pcr_pow2_shared_kernelILj4EfEEviiiPKT0_S3_S3_PS1_
                                        ; -- End function
	.set _ZN9rocsparseL35gtsv_nopivot_pcr_pow2_shared_kernelILj4EfEEviiiPKT0_S3_S3_PS1_.num_vgpr, 23
	.set _ZN9rocsparseL35gtsv_nopivot_pcr_pow2_shared_kernelILj4EfEEviiiPKT0_S3_S3_PS1_.num_agpr, 0
	.set _ZN9rocsparseL35gtsv_nopivot_pcr_pow2_shared_kernelILj4EfEEviiiPKT0_S3_S3_PS1_.numbered_sgpr, 16
	.set _ZN9rocsparseL35gtsv_nopivot_pcr_pow2_shared_kernelILj4EfEEviiiPKT0_S3_S3_PS1_.num_named_barrier, 0
	.set _ZN9rocsparseL35gtsv_nopivot_pcr_pow2_shared_kernelILj4EfEEviiiPKT0_S3_S3_PS1_.private_seg_size, 0
	.set _ZN9rocsparseL35gtsv_nopivot_pcr_pow2_shared_kernelILj4EfEEviiiPKT0_S3_S3_PS1_.uses_vcc, 1
	.set _ZN9rocsparseL35gtsv_nopivot_pcr_pow2_shared_kernelILj4EfEEviiiPKT0_S3_S3_PS1_.uses_flat_scratch, 0
	.set _ZN9rocsparseL35gtsv_nopivot_pcr_pow2_shared_kernelILj4EfEEviiiPKT0_S3_S3_PS1_.has_dyn_sized_stack, 0
	.set _ZN9rocsparseL35gtsv_nopivot_pcr_pow2_shared_kernelILj4EfEEviiiPKT0_S3_S3_PS1_.has_recursion, 0
	.set _ZN9rocsparseL35gtsv_nopivot_pcr_pow2_shared_kernelILj4EfEEviiiPKT0_S3_S3_PS1_.has_indirect_call, 0
	.section	.AMDGPU.csdata,"",@progbits
; Kernel info:
; codeLenInByte = 644
; TotalNumSgprs: 20
; NumVgprs: 23
; ScratchSize: 0
; MemoryBound: 0
; FloatMode: 240
; IeeeMode: 1
; LDSByteSize: 148 bytes/workgroup (compile time only)
; SGPRBlocks: 2
; VGPRBlocks: 5
; NumSGPRsForWavesPerEU: 20
; NumVGPRsForWavesPerEU: 23
; Occupancy: 10
; WaveLimiterHint : 0
; COMPUTE_PGM_RSRC2:SCRATCH_EN: 0
; COMPUTE_PGM_RSRC2:USER_SGPR: 6
; COMPUTE_PGM_RSRC2:TRAP_HANDLER: 0
; COMPUTE_PGM_RSRC2:TGID_X_EN: 1
; COMPUTE_PGM_RSRC2:TGID_Y_EN: 0
; COMPUTE_PGM_RSRC2:TGID_Z_EN: 0
; COMPUTE_PGM_RSRC2:TIDIG_COMP_CNT: 0
	.section	.text._ZN9rocsparseL35gtsv_nopivot_pcr_pow2_shared_kernelILj8EfEEviiiPKT0_S3_S3_PS1_,"axG",@progbits,_ZN9rocsparseL35gtsv_nopivot_pcr_pow2_shared_kernelILj8EfEEviiiPKT0_S3_S3_PS1_,comdat
	.globl	_ZN9rocsparseL35gtsv_nopivot_pcr_pow2_shared_kernelILj8EfEEviiiPKT0_S3_S3_PS1_ ; -- Begin function _ZN9rocsparseL35gtsv_nopivot_pcr_pow2_shared_kernelILj8EfEEviiiPKT0_S3_S3_PS1_
	.p2align	8
	.type	_ZN9rocsparseL35gtsv_nopivot_pcr_pow2_shared_kernelILj8EfEEviiiPKT0_S3_S3_PS1_,@function
_ZN9rocsparseL35gtsv_nopivot_pcr_pow2_shared_kernelILj8EfEEviiiPKT0_S3_S3_PS1_: ; @_ZN9rocsparseL35gtsv_nopivot_pcr_pow2_shared_kernelILj8EfEEviiiPKT0_S3_S3_PS1_
; %bb.0:
	s_load_dwordx8 s[8:15], s[4:5], 0x10
	s_load_dword s0, s[4:5], 0x8
	v_mov_b32_e32 v2, 0
	v_lshlrev_b32_e32 v3, 2, v0
	v_sub_u32_e64 v9, v0, 1 clamp
	s_waitcnt lgkmcnt(0)
	v_mov_b32_e32 v7, s15
	s_mul_i32 s0, s0, s6
	v_add_u32_e32 v1, s0, v0
	v_lshlrev_b64 v[1:2], 2, v[1:2]
	global_load_dword v4, v3, s[8:9]
	global_load_dword v5, v3, s[10:11]
	global_load_dword v6, v3, s[12:13]
	v_add_co_u32_e32 v1, vcc, s14, v1
	v_addc_co_u32_e32 v2, vcc, v7, v2, vcc
	global_load_dword v7, v[1:2], off
	v_min_u32_e32 v8, 6, v0
	v_lshlrev_b32_e32 v12, 2, v9
	v_lshlrev_b32_e32 v14, 2, v8
	s_waitcnt vmcnt(2)
	ds_write2_b32 v3, v4, v5 offset1:12
	s_waitcnt vmcnt(0)
	ds_write2_b32 v3, v6, v7 offset0:24 offset1:48
	s_waitcnt lgkmcnt(0)
	; wave barrier
	ds_read2_b32 v[4:5], v12 offset1:12
	ds_read2_b32 v[6:7], v3 offset1:12
	ds_read2_b32 v[8:9], v3 offset0:24 offset1:48
	ds_read2_b32 v[10:11], v14 offset0:1 offset1:13
	s_waitcnt lgkmcnt(2)
	v_div_scale_f32 v13, s[0:1], v5, v5, v6
	s_waitcnt lgkmcnt(0)
	v_div_scale_f32 v15, s[0:1], v11, v11, v8
	v_div_scale_f32 v16, vcc, v6, v5, v6
	v_rcp_f32_e32 v17, v13
	v_rcp_f32_e32 v18, v15
	v_fma_f32 v19, -v13, v17, 1.0
	v_fmac_f32_e32 v17, v19, v17
	v_fma_f32 v19, -v15, v18, 1.0
	v_fmac_f32_e32 v18, v19, v18
	v_mul_f32_e32 v19, v16, v17
	v_fma_f32 v20, -v13, v19, v16
	v_fmac_f32_e32 v19, v20, v17
	v_div_scale_f32 v20, s[0:1], v8, v11, v8
	v_fma_f32 v13, -v13, v19, v16
	v_div_fmas_f32 v16, v13, v17, v19
	s_mov_b64 vcc, s[0:1]
	v_min_u32_e32 v13, 5, v0
	v_lshlrev_b32_e32 v19, 2, v13
	v_mul_f32_e32 v21, v20, v18
	v_fma_f32 v22, -v15, v21, v20
	v_fmac_f32_e32 v21, v22, v18
	v_fma_f32 v15, -v15, v21, v20
	v_div_fmas_f32 v17, v15, v18, v21
	v_sub_u32_e64 v15, v0, 2 clamp
	v_lshlrev_b32_e32 v18, 2, v15
	ds_read2_b32 v[12:13], v12 offset0:24 offset1:48
	ds_read2_b32 v[14:15], v14 offset0:25 offset1:49
	v_div_fixup_f32 v5, v16, v5, v6
	v_mul_f32_e64 v4, v5, -v4
	s_waitcnt lgkmcnt(0)
	v_fma_f32 v7, -v5, v12, v7
	; wave barrier
	v_div_fixup_f32 v6, v17, v11, v8
	v_fma_f32 v8, -v5, v13, v9
	v_fma_f32 v5, -v6, v10, v7
	;; [unrolled: 1-line block ×3, first 2 shown]
	v_mul_f32_e64 v6, v6, -v14
	ds_write2_b32 v3, v4, v5 offset1:12
	ds_write2_b32 v3, v6, v7 offset0:24 offset1:48
	s_waitcnt lgkmcnt(0)
	; wave barrier
	ds_read2_b32 v[4:5], v18 offset1:12
	ds_read2_b32 v[6:7], v3 offset1:12
	ds_read2_b32 v[8:9], v3 offset0:24 offset1:48
	ds_read2_b32 v[10:11], v19 offset0:2 offset1:14
	s_waitcnt lgkmcnt(2)
	v_div_scale_f32 v12, s[0:1], v5, v5, v6
	s_waitcnt lgkmcnt(0)
	v_div_scale_f32 v13, s[0:1], v11, v11, v8
	v_div_scale_f32 v14, vcc, v6, v5, v6
	v_rcp_f32_e32 v15, v12
	v_rcp_f32_e32 v16, v13
	v_fma_f32 v17, -v12, v15, 1.0
	v_fmac_f32_e32 v15, v17, v15
	v_fma_f32 v17, -v13, v16, 1.0
	v_fmac_f32_e32 v16, v17, v16
	v_mul_f32_e32 v17, v14, v15
	v_fma_f32 v20, -v12, v17, v14
	v_fmac_f32_e32 v17, v20, v15
	v_div_scale_f32 v20, s[0:1], v8, v11, v8
	v_fma_f32 v12, -v12, v17, v14
	v_div_fmas_f32 v17, v12, v15, v17
	s_mov_b64 vcc, s[0:1]
	v_mul_f32_e32 v21, v20, v16
	v_fma_f32 v22, -v13, v21, v20
	v_fmac_f32_e32 v21, v22, v16
	v_fma_f32 v13, -v13, v21, v20
	v_div_fmas_f32 v16, v13, v16, v21
	ds_read2_b32 v[12:13], v18 offset0:24 offset1:48
	ds_read2_b32 v[14:15], v19 offset0:26 offset1:50
	v_div_fixup_f32 v5, v17, v5, v6
	v_mul_f32_e64 v4, v5, -v4
	v_cmp_gt_u32_e32 vcc, 4, v0
	s_waitcnt lgkmcnt(1)
	v_fma_f32 v7, -v5, v12, v7
	s_waitcnt lgkmcnt(0)
	; wave barrier
	v_div_fixup_f32 v6, v16, v11, v8
	v_fma_f32 v8, -v5, v13, v9
	v_fma_f32 v5, -v6, v10, v7
	;; [unrolled: 1-line block ×3, first 2 shown]
	v_mul_f32_e64 v6, v6, -v14
	ds_write2_b32 v3, v4, v5 offset1:12
	ds_write2_b32 v3, v6, v7 offset0:24 offset1:48
	s_waitcnt lgkmcnt(0)
	; wave barrier
	s_and_saveexec_b64 s[0:1], vcc
	s_cbranch_execz .LBB2_2
; %bb.1:
	v_or_b32_e32 v4, 0x60, v3
	v_add_u32_e32 v0, 48, v3
	ds_read_b32 v8, v4
	ds_read_b32 v9, v3 offset:16
	ds_read2_b32 v[4:5], v0 offset1:4
	s_waitcnt lgkmcnt(1)
	v_mul_f32_e32 v0, v8, v9
	s_waitcnt lgkmcnt(0)
	v_fma_f32 v0, v5, v4, -v0
	v_div_scale_f32 v6, s[2:3], v0, v0, 1.0
	v_div_scale_f32 v7, vcc, 1.0, v0, 1.0
	v_rcp_f32_e32 v10, v6
	v_fma_f32 v11, -v6, v10, 1.0
	v_fmac_f32_e32 v10, v11, v10
	v_mul_f32_e32 v11, v7, v10
	v_fma_f32 v12, -v6, v11, v7
	v_fmac_f32_e32 v11, v12, v10
	v_fma_f32 v6, -v6, v11, v7
	v_div_fmas_f32 v10, v6, v10, v11
	v_or_b32_e32 v6, 0xc0, v3
	ds_read2_b32 v[6:7], v6 offset1:4
	s_waitcnt lgkmcnt(0)
	v_mul_f32_e32 v8, v8, v7
	v_mul_f32_e32 v9, v9, v6
	v_fma_f32 v5, v5, v6, -v8
	v_fma_f32 v4, v4, v7, -v9
	v_div_fixup_f32 v0, v10, v0, 1.0
	v_mul_f32_e32 v5, v0, v5
	v_mul_f32_e32 v0, v0, v4
	ds_write2_b32 v3, v5, v0 offset0:36 offset1:40
.LBB2_2:
	s_or_b64 exec, exec, s[0:1]
	s_waitcnt lgkmcnt(0)
	; wave barrier
	ds_read_b32 v0, v3 offset:144
	s_waitcnt lgkmcnt(0)
	global_store_dword v[1:2], v0, off
	s_endpgm
	.section	.rodata,"a",@progbits
	.p2align	6, 0x0
	.amdhsa_kernel _ZN9rocsparseL35gtsv_nopivot_pcr_pow2_shared_kernelILj8EfEEviiiPKT0_S3_S3_PS1_
		.amdhsa_group_segment_fixed_size 228
		.amdhsa_private_segment_fixed_size 0
		.amdhsa_kernarg_size 48
		.amdhsa_user_sgpr_count 6
		.amdhsa_user_sgpr_private_segment_buffer 1
		.amdhsa_user_sgpr_dispatch_ptr 0
		.amdhsa_user_sgpr_queue_ptr 0
		.amdhsa_user_sgpr_kernarg_segment_ptr 1
		.amdhsa_user_sgpr_dispatch_id 0
		.amdhsa_user_sgpr_flat_scratch_init 0
		.amdhsa_user_sgpr_private_segment_size 0
		.amdhsa_uses_dynamic_stack 0
		.amdhsa_system_sgpr_private_segment_wavefront_offset 0
		.amdhsa_system_sgpr_workgroup_id_x 1
		.amdhsa_system_sgpr_workgroup_id_y 0
		.amdhsa_system_sgpr_workgroup_id_z 0
		.amdhsa_system_sgpr_workgroup_info 0
		.amdhsa_system_vgpr_workitem_id 0
		.amdhsa_next_free_vgpr 23
		.amdhsa_next_free_sgpr 16
		.amdhsa_reserve_vcc 1
		.amdhsa_reserve_flat_scratch 0
		.amdhsa_float_round_mode_32 0
		.amdhsa_float_round_mode_16_64 0
		.amdhsa_float_denorm_mode_32 3
		.amdhsa_float_denorm_mode_16_64 3
		.amdhsa_dx10_clamp 1
		.amdhsa_ieee_mode 1
		.amdhsa_fp16_overflow 0
		.amdhsa_exception_fp_ieee_invalid_op 0
		.amdhsa_exception_fp_denorm_src 0
		.amdhsa_exception_fp_ieee_div_zero 0
		.amdhsa_exception_fp_ieee_overflow 0
		.amdhsa_exception_fp_ieee_underflow 0
		.amdhsa_exception_fp_ieee_inexact 0
		.amdhsa_exception_int_div_zero 0
	.end_amdhsa_kernel
	.section	.text._ZN9rocsparseL35gtsv_nopivot_pcr_pow2_shared_kernelILj8EfEEviiiPKT0_S3_S3_PS1_,"axG",@progbits,_ZN9rocsparseL35gtsv_nopivot_pcr_pow2_shared_kernelILj8EfEEviiiPKT0_S3_S3_PS1_,comdat
.Lfunc_end2:
	.size	_ZN9rocsparseL35gtsv_nopivot_pcr_pow2_shared_kernelILj8EfEEviiiPKT0_S3_S3_PS1_, .Lfunc_end2-_ZN9rocsparseL35gtsv_nopivot_pcr_pow2_shared_kernelILj8EfEEviiiPKT0_S3_S3_PS1_
                                        ; -- End function
	.set _ZN9rocsparseL35gtsv_nopivot_pcr_pow2_shared_kernelILj8EfEEviiiPKT0_S3_S3_PS1_.num_vgpr, 23
	.set _ZN9rocsparseL35gtsv_nopivot_pcr_pow2_shared_kernelILj8EfEEviiiPKT0_S3_S3_PS1_.num_agpr, 0
	.set _ZN9rocsparseL35gtsv_nopivot_pcr_pow2_shared_kernelILj8EfEEviiiPKT0_S3_S3_PS1_.numbered_sgpr, 16
	.set _ZN9rocsparseL35gtsv_nopivot_pcr_pow2_shared_kernelILj8EfEEviiiPKT0_S3_S3_PS1_.num_named_barrier, 0
	.set _ZN9rocsparseL35gtsv_nopivot_pcr_pow2_shared_kernelILj8EfEEviiiPKT0_S3_S3_PS1_.private_seg_size, 0
	.set _ZN9rocsparseL35gtsv_nopivot_pcr_pow2_shared_kernelILj8EfEEviiiPKT0_S3_S3_PS1_.uses_vcc, 1
	.set _ZN9rocsparseL35gtsv_nopivot_pcr_pow2_shared_kernelILj8EfEEviiiPKT0_S3_S3_PS1_.uses_flat_scratch, 0
	.set _ZN9rocsparseL35gtsv_nopivot_pcr_pow2_shared_kernelILj8EfEEviiiPKT0_S3_S3_PS1_.has_dyn_sized_stack, 0
	.set _ZN9rocsparseL35gtsv_nopivot_pcr_pow2_shared_kernelILj8EfEEviiiPKT0_S3_S3_PS1_.has_recursion, 0
	.set _ZN9rocsparseL35gtsv_nopivot_pcr_pow2_shared_kernelILj8EfEEviiiPKT0_S3_S3_PS1_.has_indirect_call, 0
	.section	.AMDGPU.csdata,"",@progbits
; Kernel info:
; codeLenInByte = 944
; TotalNumSgprs: 20
; NumVgprs: 23
; ScratchSize: 0
; MemoryBound: 0
; FloatMode: 240
; IeeeMode: 1
; LDSByteSize: 228 bytes/workgroup (compile time only)
; SGPRBlocks: 2
; VGPRBlocks: 5
; NumSGPRsForWavesPerEU: 20
; NumVGPRsForWavesPerEU: 23
; Occupancy: 10
; WaveLimiterHint : 0
; COMPUTE_PGM_RSRC2:SCRATCH_EN: 0
; COMPUTE_PGM_RSRC2:USER_SGPR: 6
; COMPUTE_PGM_RSRC2:TRAP_HANDLER: 0
; COMPUTE_PGM_RSRC2:TGID_X_EN: 1
; COMPUTE_PGM_RSRC2:TGID_Y_EN: 0
; COMPUTE_PGM_RSRC2:TGID_Z_EN: 0
; COMPUTE_PGM_RSRC2:TIDIG_COMP_CNT: 0
	.section	.text._ZN9rocsparseL35gtsv_nopivot_pcr_pow2_shared_kernelILj16EfEEviiiPKT0_S3_S3_PS1_,"axG",@progbits,_ZN9rocsparseL35gtsv_nopivot_pcr_pow2_shared_kernelILj16EfEEviiiPKT0_S3_S3_PS1_,comdat
	.globl	_ZN9rocsparseL35gtsv_nopivot_pcr_pow2_shared_kernelILj16EfEEviiiPKT0_S3_S3_PS1_ ; -- Begin function _ZN9rocsparseL35gtsv_nopivot_pcr_pow2_shared_kernelILj16EfEEviiiPKT0_S3_S3_PS1_
	.p2align	8
	.type	_ZN9rocsparseL35gtsv_nopivot_pcr_pow2_shared_kernelILj16EfEEviiiPKT0_S3_S3_PS1_,@function
_ZN9rocsparseL35gtsv_nopivot_pcr_pow2_shared_kernelILj16EfEEviiiPKT0_S3_S3_PS1_: ; @_ZN9rocsparseL35gtsv_nopivot_pcr_pow2_shared_kernelILj16EfEEviiiPKT0_S3_S3_PS1_
; %bb.0:
	s_load_dwordx8 s[8:15], s[4:5], 0x10
	s_load_dword s0, s[4:5], 0x8
	v_mov_b32_e32 v2, 0
	v_lshlrev_b32_e32 v3, 2, v0
	v_min_u32_e32 v8, 14, v0
	s_waitcnt lgkmcnt(0)
	v_mov_b32_e32 v7, s15
	s_mul_i32 s0, s0, s6
	v_add_u32_e32 v1, s0, v0
	v_lshlrev_b64 v[1:2], 2, v[1:2]
	global_load_dword v4, v3, s[8:9]
	global_load_dword v5, v3, s[10:11]
	global_load_dword v6, v3, s[12:13]
	v_add_co_u32_e32 v1, vcc, s14, v1
	v_addc_co_u32_e32 v2, vcc, v7, v2, vcc
	global_load_dword v7, v[1:2], off
	v_sub_u32_e64 v9, v0, 1 clamp
	v_lshlrev_b32_e32 v12, 2, v9
	v_lshlrev_b32_e32 v14, 2, v8
	s_waitcnt vmcnt(2)
	ds_write2_b32 v3, v4, v5 offset1:20
	s_waitcnt vmcnt(0)
	ds_write2_b32 v3, v6, v7 offset0:40 offset1:80
	s_waitcnt lgkmcnt(0)
	; wave barrier
	ds_read2_b32 v[4:5], v3 offset1:20
	ds_read2_b32 v[6:7], v12 offset1:20
	ds_read2_b32 v[8:9], v3 offset0:40 offset1:80
	ds_read2_b32 v[10:11], v14 offset0:1 offset1:21
	s_waitcnt lgkmcnt(2)
	v_div_scale_f32 v13, s[0:1], v7, v7, v4
	s_waitcnt lgkmcnt(0)
	v_div_scale_f32 v15, s[0:1], v11, v11, v8
	v_div_scale_f32 v16, vcc, v4, v7, v4
	v_rcp_f32_e32 v17, v13
	v_rcp_f32_e32 v18, v15
	v_fma_f32 v19, -v13, v17, 1.0
	v_fmac_f32_e32 v17, v19, v17
	v_fma_f32 v19, -v15, v18, 1.0
	v_fmac_f32_e32 v18, v19, v18
	v_mul_f32_e32 v19, v16, v17
	v_fma_f32 v20, -v13, v19, v16
	v_fmac_f32_e32 v19, v20, v17
	v_div_scale_f32 v20, s[0:1], v8, v11, v8
	v_fma_f32 v13, -v13, v19, v16
	v_div_fmas_f32 v16, v13, v17, v19
	s_mov_b64 vcc, s[0:1]
	v_min_u32_e32 v13, 13, v0
	v_lshlrev_b32_e32 v19, 2, v13
	v_mul_f32_e32 v21, v20, v18
	v_fma_f32 v22, -v15, v21, v20
	v_fmac_f32_e32 v21, v22, v18
	v_fma_f32 v15, -v15, v21, v20
	v_div_fmas_f32 v17, v15, v18, v21
	v_sub_u32_e64 v15, v0, 2 clamp
	v_lshlrev_b32_e32 v18, 2, v15
	ds_read2_b32 v[12:13], v12 offset0:40 offset1:80
	ds_read2_b32 v[14:15], v14 offset0:41 offset1:81
	v_div_fixup_f32 v4, v16, v7, v4
	s_waitcnt lgkmcnt(0)
	; wave barrier
	v_fma_f32 v5, -v4, v12, v5
	v_div_fixup_f32 v7, v17, v11, v8
	v_fma_f32 v8, -v4, v13, v9
	v_mul_f32_e64 v4, v4, -v6
	v_fma_f32 v5, -v7, v10, v5
	v_fma_f32 v6, -v7, v15, v8
	v_mul_f32_e64 v7, v7, -v14
	ds_write2_b32 v3, v4, v5 offset1:20
	ds_write2_b32 v3, v7, v6 offset0:40 offset1:80
	s_waitcnt lgkmcnt(0)
	; wave barrier
	ds_read2_b32 v[4:5], v3 offset1:20
	ds_read2_b32 v[6:7], v18 offset1:20
	ds_read2_b32 v[8:9], v3 offset0:40 offset1:80
	ds_read2_b32 v[10:11], v19 offset0:2 offset1:22
	s_waitcnt lgkmcnt(2)
	v_div_scale_f32 v12, s[0:1], v7, v7, v4
	s_waitcnt lgkmcnt(0)
	v_div_scale_f32 v13, s[0:1], v11, v11, v8
	v_div_scale_f32 v14, vcc, v4, v7, v4
	v_rcp_f32_e32 v15, v12
	v_rcp_f32_e32 v16, v13
	v_fma_f32 v17, -v12, v15, 1.0
	v_fmac_f32_e32 v15, v17, v15
	v_fma_f32 v17, -v13, v16, 1.0
	v_fmac_f32_e32 v16, v17, v16
	v_mul_f32_e32 v17, v14, v15
	v_fma_f32 v20, -v12, v17, v14
	v_fmac_f32_e32 v17, v20, v15
	v_div_scale_f32 v20, s[0:1], v8, v11, v8
	v_fma_f32 v12, -v12, v17, v14
	v_div_fmas_f32 v17, v12, v15, v17
	s_mov_b64 vcc, s[0:1]
	v_min_u32_e32 v12, 11, v0
	v_mul_f32_e32 v21, v20, v16
	v_fma_f32 v22, -v13, v21, v20
	v_fmac_f32_e32 v21, v22, v16
	v_fma_f32 v13, -v13, v21, v20
	v_div_fmas_f32 v16, v13, v16, v21
	v_sub_u32_e64 v13, v0, 4 clamp
	v_lshlrev_b32_e32 v20, 2, v13
	v_lshlrev_b32_e32 v21, 2, v12
	ds_read2_b32 v[12:13], v18 offset0:40 offset1:80
	ds_read2_b32 v[14:15], v19 offset0:42 offset1:82
	v_div_fixup_f32 v4, v17, v7, v4
	s_waitcnt lgkmcnt(0)
	; wave barrier
	v_fma_f32 v5, -v4, v12, v5
	v_div_fixup_f32 v7, v16, v11, v8
	v_fma_f32 v8, -v4, v13, v9
	v_mul_f32_e64 v4, v4, -v6
	v_fma_f32 v5, -v7, v10, v5
	v_fma_f32 v6, -v7, v15, v8
	v_mul_f32_e64 v7, v7, -v14
	ds_write2_b32 v3, v4, v5 offset1:20
	ds_write2_b32 v3, v7, v6 offset0:40 offset1:80
	s_waitcnt lgkmcnt(0)
	; wave barrier
	ds_read2_b32 v[4:5], v3 offset1:20
	ds_read2_b32 v[6:7], v20 offset1:20
	ds_read2_b32 v[8:9], v3 offset0:40 offset1:80
	ds_read2_b32 v[10:11], v21 offset0:4 offset1:24
	s_waitcnt lgkmcnt(2)
	v_div_scale_f32 v12, s[0:1], v7, v7, v4
	s_waitcnt lgkmcnt(0)
	v_div_scale_f32 v13, s[0:1], v11, v11, v8
	v_div_scale_f32 v14, vcc, v4, v7, v4
	v_rcp_f32_e32 v15, v12
	v_rcp_f32_e32 v16, v13
	v_fma_f32 v17, -v12, v15, 1.0
	v_fmac_f32_e32 v15, v17, v15
	v_fma_f32 v17, -v13, v16, 1.0
	v_fmac_f32_e32 v16, v17, v16
	v_mul_f32_e32 v17, v14, v15
	v_fma_f32 v18, -v12, v17, v14
	v_fmac_f32_e32 v17, v18, v15
	v_div_scale_f32 v18, s[0:1], v8, v11, v8
	v_fma_f32 v12, -v12, v17, v14
	v_div_fmas_f32 v17, v12, v15, v17
	s_mov_b64 vcc, s[0:1]
	v_mul_f32_e32 v19, v18, v16
	v_fma_f32 v22, -v13, v19, v18
	v_fmac_f32_e32 v19, v22, v16
	v_fma_f32 v13, -v13, v19, v18
	v_div_fmas_f32 v16, v13, v16, v19
	ds_read2_b32 v[12:13], v20 offset0:40 offset1:80
	ds_read2_b32 v[14:15], v21 offset0:44 offset1:84
	v_div_fixup_f32 v4, v17, v7, v4
	v_cmp_gt_u32_e32 vcc, 8, v0
	s_waitcnt lgkmcnt(0)
	v_fma_f32 v5, -v4, v12, v5
	; wave barrier
	v_div_fixup_f32 v7, v16, v11, v8
	v_fma_f32 v8, -v4, v13, v9
	v_mul_f32_e64 v4, v4, -v6
	v_fma_f32 v5, -v7, v10, v5
	v_fma_f32 v6, -v7, v15, v8
	v_mul_f32_e64 v7, v7, -v14
	ds_write2_b32 v3, v4, v5 offset1:20
	ds_write2_b32 v3, v7, v6 offset0:40 offset1:80
	s_waitcnt lgkmcnt(0)
	; wave barrier
	s_and_saveexec_b64 s[0:1], vcc
	s_cbranch_execz .LBB3_2
; %bb.1:
	v_add_u32_e32 v4, 0xa0, v3
	v_add_u32_e32 v0, 0x50, v3
	ds_read_b32 v8, v4
	ds_read_b32 v9, v3 offset:32
	ds_read2_b32 v[4:5], v0 offset1:8
	s_waitcnt lgkmcnt(1)
	v_mul_f32_e32 v0, v8, v9
	s_waitcnt lgkmcnt(0)
	v_fma_f32 v0, v5, v4, -v0
	v_div_scale_f32 v6, s[2:3], v0, v0, 1.0
	v_div_scale_f32 v7, vcc, 1.0, v0, 1.0
	v_rcp_f32_e32 v10, v6
	v_fma_f32 v11, -v6, v10, 1.0
	v_fmac_f32_e32 v10, v11, v10
	v_mul_f32_e32 v11, v7, v10
	v_fma_f32 v12, -v6, v11, v7
	v_fmac_f32_e32 v11, v12, v10
	v_fma_f32 v6, -v6, v11, v7
	v_div_fmas_f32 v10, v6, v10, v11
	v_or_b32_e32 v6, 0x140, v3
	ds_read2_b32 v[6:7], v6 offset1:8
	s_waitcnt lgkmcnt(0)
	v_mul_f32_e32 v8, v8, v7
	v_mul_f32_e32 v9, v9, v6
	v_fma_f32 v5, v5, v6, -v8
	v_fma_f32 v4, v4, v7, -v9
	v_div_fixup_f32 v0, v10, v0, 1.0
	v_mul_f32_e32 v5, v0, v5
	v_mul_f32_e32 v0, v0, v4
	ds_write2_b32 v3, v5, v0 offset0:60 offset1:68
.LBB3_2:
	s_or_b64 exec, exec, s[0:1]
	s_waitcnt lgkmcnt(0)
	; wave barrier
	ds_read_b32 v0, v3 offset:240
	s_waitcnt lgkmcnt(0)
	global_store_dword v[1:2], v0, off
	s_endpgm
	.section	.rodata,"a",@progbits
	.p2align	6, 0x0
	.amdhsa_kernel _ZN9rocsparseL35gtsv_nopivot_pcr_pow2_shared_kernelILj16EfEEviiiPKT0_S3_S3_PS1_
		.amdhsa_group_segment_fixed_size 388
		.amdhsa_private_segment_fixed_size 0
		.amdhsa_kernarg_size 48
		.amdhsa_user_sgpr_count 6
		.amdhsa_user_sgpr_private_segment_buffer 1
		.amdhsa_user_sgpr_dispatch_ptr 0
		.amdhsa_user_sgpr_queue_ptr 0
		.amdhsa_user_sgpr_kernarg_segment_ptr 1
		.amdhsa_user_sgpr_dispatch_id 0
		.amdhsa_user_sgpr_flat_scratch_init 0
		.amdhsa_user_sgpr_private_segment_size 0
		.amdhsa_uses_dynamic_stack 0
		.amdhsa_system_sgpr_private_segment_wavefront_offset 0
		.amdhsa_system_sgpr_workgroup_id_x 1
		.amdhsa_system_sgpr_workgroup_id_y 0
		.amdhsa_system_sgpr_workgroup_id_z 0
		.amdhsa_system_sgpr_workgroup_info 0
		.amdhsa_system_vgpr_workitem_id 0
		.amdhsa_next_free_vgpr 23
		.amdhsa_next_free_sgpr 16
		.amdhsa_reserve_vcc 1
		.amdhsa_reserve_flat_scratch 0
		.amdhsa_float_round_mode_32 0
		.amdhsa_float_round_mode_16_64 0
		.amdhsa_float_denorm_mode_32 3
		.amdhsa_float_denorm_mode_16_64 3
		.amdhsa_dx10_clamp 1
		.amdhsa_ieee_mode 1
		.amdhsa_fp16_overflow 0
		.amdhsa_exception_fp_ieee_invalid_op 0
		.amdhsa_exception_fp_denorm_src 0
		.amdhsa_exception_fp_ieee_div_zero 0
		.amdhsa_exception_fp_ieee_overflow 0
		.amdhsa_exception_fp_ieee_underflow 0
		.amdhsa_exception_fp_ieee_inexact 0
		.amdhsa_exception_int_div_zero 0
	.end_amdhsa_kernel
	.section	.text._ZN9rocsparseL35gtsv_nopivot_pcr_pow2_shared_kernelILj16EfEEviiiPKT0_S3_S3_PS1_,"axG",@progbits,_ZN9rocsparseL35gtsv_nopivot_pcr_pow2_shared_kernelILj16EfEEviiiPKT0_S3_S3_PS1_,comdat
.Lfunc_end3:
	.size	_ZN9rocsparseL35gtsv_nopivot_pcr_pow2_shared_kernelILj16EfEEviiiPKT0_S3_S3_PS1_, .Lfunc_end3-_ZN9rocsparseL35gtsv_nopivot_pcr_pow2_shared_kernelILj16EfEEviiiPKT0_S3_S3_PS1_
                                        ; -- End function
	.set _ZN9rocsparseL35gtsv_nopivot_pcr_pow2_shared_kernelILj16EfEEviiiPKT0_S3_S3_PS1_.num_vgpr, 23
	.set _ZN9rocsparseL35gtsv_nopivot_pcr_pow2_shared_kernelILj16EfEEviiiPKT0_S3_S3_PS1_.num_agpr, 0
	.set _ZN9rocsparseL35gtsv_nopivot_pcr_pow2_shared_kernelILj16EfEEviiiPKT0_S3_S3_PS1_.numbered_sgpr, 16
	.set _ZN9rocsparseL35gtsv_nopivot_pcr_pow2_shared_kernelILj16EfEEviiiPKT0_S3_S3_PS1_.num_named_barrier, 0
	.set _ZN9rocsparseL35gtsv_nopivot_pcr_pow2_shared_kernelILj16EfEEviiiPKT0_S3_S3_PS1_.private_seg_size, 0
	.set _ZN9rocsparseL35gtsv_nopivot_pcr_pow2_shared_kernelILj16EfEEviiiPKT0_S3_S3_PS1_.uses_vcc, 1
	.set _ZN9rocsparseL35gtsv_nopivot_pcr_pow2_shared_kernelILj16EfEEviiiPKT0_S3_S3_PS1_.uses_flat_scratch, 0
	.set _ZN9rocsparseL35gtsv_nopivot_pcr_pow2_shared_kernelILj16EfEEviiiPKT0_S3_S3_PS1_.has_dyn_sized_stack, 0
	.set _ZN9rocsparseL35gtsv_nopivot_pcr_pow2_shared_kernelILj16EfEEviiiPKT0_S3_S3_PS1_.has_recursion, 0
	.set _ZN9rocsparseL35gtsv_nopivot_pcr_pow2_shared_kernelILj16EfEEviiiPKT0_S3_S3_PS1_.has_indirect_call, 0
	.section	.AMDGPU.csdata,"",@progbits
; Kernel info:
; codeLenInByte = 1240
; TotalNumSgprs: 20
; NumVgprs: 23
; ScratchSize: 0
; MemoryBound: 0
; FloatMode: 240
; IeeeMode: 1
; LDSByteSize: 388 bytes/workgroup (compile time only)
; SGPRBlocks: 2
; VGPRBlocks: 5
; NumSGPRsForWavesPerEU: 20
; NumVGPRsForWavesPerEU: 23
; Occupancy: 10
; WaveLimiterHint : 0
; COMPUTE_PGM_RSRC2:SCRATCH_EN: 0
; COMPUTE_PGM_RSRC2:USER_SGPR: 6
; COMPUTE_PGM_RSRC2:TRAP_HANDLER: 0
; COMPUTE_PGM_RSRC2:TGID_X_EN: 1
; COMPUTE_PGM_RSRC2:TGID_Y_EN: 0
; COMPUTE_PGM_RSRC2:TGID_Z_EN: 0
; COMPUTE_PGM_RSRC2:TIDIG_COMP_CNT: 0
	.section	.text._ZN9rocsparseL35gtsv_nopivot_pcr_pow2_shared_kernelILj32EfEEviiiPKT0_S3_S3_PS1_,"axG",@progbits,_ZN9rocsparseL35gtsv_nopivot_pcr_pow2_shared_kernelILj32EfEEviiiPKT0_S3_S3_PS1_,comdat
	.globl	_ZN9rocsparseL35gtsv_nopivot_pcr_pow2_shared_kernelILj32EfEEviiiPKT0_S3_S3_PS1_ ; -- Begin function _ZN9rocsparseL35gtsv_nopivot_pcr_pow2_shared_kernelILj32EfEEviiiPKT0_S3_S3_PS1_
	.p2align	8
	.type	_ZN9rocsparseL35gtsv_nopivot_pcr_pow2_shared_kernelILj32EfEEviiiPKT0_S3_S3_PS1_,@function
_ZN9rocsparseL35gtsv_nopivot_pcr_pow2_shared_kernelILj32EfEEviiiPKT0_S3_S3_PS1_: ; @_ZN9rocsparseL35gtsv_nopivot_pcr_pow2_shared_kernelILj32EfEEviiiPKT0_S3_S3_PS1_
; %bb.0:
	s_load_dwordx8 s[8:15], s[4:5], 0x10
	s_load_dword s0, s[4:5], 0x8
	v_mov_b32_e32 v2, 0
	v_lshlrev_b32_e32 v3, 2, v0
	v_min_u32_e32 v8, 30, v0
	s_waitcnt lgkmcnt(0)
	v_mov_b32_e32 v7, s15
	s_mul_i32 s0, s0, s6
	v_add_u32_e32 v1, s0, v0
	v_lshlrev_b64 v[1:2], 2, v[1:2]
	global_load_dword v4, v3, s[8:9]
	global_load_dword v5, v3, s[10:11]
	;; [unrolled: 1-line block ×3, first 2 shown]
	v_add_co_u32_e32 v1, vcc, s14, v1
	v_addc_co_u32_e32 v2, vcc, v7, v2, vcc
	global_load_dword v7, v[1:2], off
	v_sub_u32_e64 v9, v0, 1 clamp
	v_lshlrev_b32_e32 v12, 2, v9
	v_lshlrev_b32_e32 v14, 2, v8
	s_waitcnt vmcnt(2)
	ds_write2_b32 v3, v4, v5 offset1:36
	s_waitcnt vmcnt(0)
	ds_write2_b32 v3, v6, v7 offset0:72 offset1:144
	s_waitcnt lgkmcnt(0)
	; wave barrier
	ds_read2_b32 v[4:5], v3 offset1:36
	ds_read2_b32 v[6:7], v12 offset1:36
	ds_read2_b32 v[8:9], v3 offset0:72 offset1:144
	ds_read2_b32 v[10:11], v14 offset0:1 offset1:37
	s_waitcnt lgkmcnt(2)
	v_div_scale_f32 v13, s[0:1], v7, v7, v4
	s_waitcnt lgkmcnt(0)
	v_div_scale_f32 v15, s[0:1], v11, v11, v8
	v_div_scale_f32 v16, vcc, v4, v7, v4
	v_rcp_f32_e32 v17, v13
	v_rcp_f32_e32 v18, v15
	v_fma_f32 v19, -v13, v17, 1.0
	v_fmac_f32_e32 v17, v19, v17
	v_fma_f32 v19, -v15, v18, 1.0
	v_fmac_f32_e32 v18, v19, v18
	v_mul_f32_e32 v19, v16, v17
	v_fma_f32 v20, -v13, v19, v16
	v_fmac_f32_e32 v19, v20, v17
	v_div_scale_f32 v20, s[0:1], v8, v11, v8
	v_fma_f32 v13, -v13, v19, v16
	v_div_fmas_f32 v16, v13, v17, v19
	s_mov_b64 vcc, s[0:1]
	v_min_u32_e32 v13, 29, v0
	v_lshlrev_b32_e32 v19, 2, v13
	v_mul_f32_e32 v21, v20, v18
	v_fma_f32 v22, -v15, v21, v20
	v_fmac_f32_e32 v21, v22, v18
	v_fma_f32 v15, -v15, v21, v20
	v_div_fmas_f32 v17, v15, v18, v21
	v_sub_u32_e64 v15, v0, 2 clamp
	v_lshlrev_b32_e32 v18, 2, v15
	ds_read2_b32 v[12:13], v12 offset0:72 offset1:144
	ds_read2_b32 v[14:15], v14 offset0:73 offset1:145
	v_div_fixup_f32 v4, v16, v7, v4
	s_waitcnt lgkmcnt(0)
	; wave barrier
	v_fma_f32 v5, -v4, v12, v5
	v_div_fixup_f32 v7, v17, v11, v8
	v_fma_f32 v8, -v4, v13, v9
	v_mul_f32_e64 v4, v4, -v6
	v_fma_f32 v5, -v7, v10, v5
	v_fma_f32 v6, -v7, v15, v8
	v_mul_f32_e64 v7, v7, -v14
	ds_write2_b32 v3, v4, v5 offset1:36
	ds_write2_b32 v3, v7, v6 offset0:72 offset1:144
	s_waitcnt lgkmcnt(0)
	; wave barrier
	ds_read2_b32 v[4:5], v3 offset1:36
	ds_read2_b32 v[6:7], v18 offset1:36
	ds_read2_b32 v[8:9], v3 offset0:72 offset1:144
	ds_read2_b32 v[10:11], v19 offset0:2 offset1:38
	s_waitcnt lgkmcnt(2)
	v_div_scale_f32 v12, s[0:1], v7, v7, v4
	s_waitcnt lgkmcnt(0)
	v_div_scale_f32 v13, s[0:1], v11, v11, v8
	v_div_scale_f32 v14, vcc, v4, v7, v4
	v_rcp_f32_e32 v15, v12
	v_rcp_f32_e32 v16, v13
	v_fma_f32 v17, -v12, v15, 1.0
	v_fmac_f32_e32 v15, v17, v15
	v_fma_f32 v17, -v13, v16, 1.0
	v_fmac_f32_e32 v16, v17, v16
	v_mul_f32_e32 v17, v14, v15
	v_fma_f32 v20, -v12, v17, v14
	v_fmac_f32_e32 v17, v20, v15
	v_div_scale_f32 v20, s[0:1], v8, v11, v8
	v_fma_f32 v12, -v12, v17, v14
	v_div_fmas_f32 v17, v12, v15, v17
	s_mov_b64 vcc, s[0:1]
	v_min_u32_e32 v12, 27, v0
	v_mul_f32_e32 v21, v20, v16
	v_fma_f32 v22, -v13, v21, v20
	v_fmac_f32_e32 v21, v22, v16
	v_fma_f32 v13, -v13, v21, v20
	v_div_fmas_f32 v16, v13, v16, v21
	v_sub_u32_e64 v13, v0, 4 clamp
	v_lshlrev_b32_e32 v20, 2, v13
	v_lshlrev_b32_e32 v21, 2, v12
	ds_read2_b32 v[12:13], v18 offset0:72 offset1:144
	ds_read2_b32 v[14:15], v19 offset0:74 offset1:146
	v_div_fixup_f32 v4, v17, v7, v4
	s_waitcnt lgkmcnt(0)
	; wave barrier
	v_fma_f32 v5, -v4, v12, v5
	v_div_fixup_f32 v7, v16, v11, v8
	v_fma_f32 v8, -v4, v13, v9
	v_mul_f32_e64 v4, v4, -v6
	v_fma_f32 v5, -v7, v10, v5
	v_fma_f32 v6, -v7, v15, v8
	v_mul_f32_e64 v7, v7, -v14
	ds_write2_b32 v3, v4, v5 offset1:36
	ds_write2_b32 v3, v7, v6 offset0:72 offset1:144
	s_waitcnt lgkmcnt(0)
	; wave barrier
	ds_read2_b32 v[4:5], v3 offset1:36
	ds_read2_b32 v[6:7], v20 offset1:36
	ds_read2_b32 v[8:9], v3 offset0:72 offset1:144
	ds_read2_b32 v[10:11], v21 offset0:4 offset1:40
	s_waitcnt lgkmcnt(2)
	v_div_scale_f32 v12, s[0:1], v7, v7, v4
	s_waitcnt lgkmcnt(0)
	v_div_scale_f32 v13, s[0:1], v11, v11, v8
	v_div_scale_f32 v14, vcc, v4, v7, v4
	v_rcp_f32_e32 v15, v12
	v_rcp_f32_e32 v16, v13
	v_fma_f32 v17, -v12, v15, 1.0
	v_fmac_f32_e32 v15, v17, v15
	v_fma_f32 v17, -v13, v16, 1.0
	v_fmac_f32_e32 v16, v17, v16
	v_mul_f32_e32 v17, v14, v15
	v_fma_f32 v18, -v12, v17, v14
	v_fmac_f32_e32 v17, v18, v15
	v_div_scale_f32 v18, s[0:1], v8, v11, v8
	v_fma_f32 v12, -v12, v17, v14
	v_div_fmas_f32 v17, v12, v15, v17
	s_mov_b64 vcc, s[0:1]
	v_min_u32_e32 v12, 23, v0
	v_mul_f32_e32 v19, v18, v16
	v_fma_f32 v22, -v13, v19, v18
	v_fmac_f32_e32 v19, v22, v16
	v_fma_f32 v13, -v13, v19, v18
	v_div_fmas_f32 v16, v13, v16, v19
	v_sub_u32_e64 v13, v0, 8 clamp
	v_lshlrev_b32_e32 v18, 2, v13
	v_lshlrev_b32_e32 v19, 2, v12
	ds_read2_b32 v[12:13], v20 offset0:72 offset1:144
	ds_read2_b32 v[14:15], v21 offset0:76 offset1:148
	v_div_fixup_f32 v4, v17, v7, v4
	s_waitcnt lgkmcnt(0)
	; wave barrier
	v_fma_f32 v5, -v4, v12, v5
	v_div_fixup_f32 v7, v16, v11, v8
	v_fma_f32 v8, -v4, v13, v9
	v_mul_f32_e64 v4, v4, -v6
	v_fma_f32 v5, -v7, v10, v5
	v_fma_f32 v6, -v7, v15, v8
	v_mul_f32_e64 v7, v7, -v14
	ds_write2_b32 v3, v4, v5 offset1:36
	ds_write2_b32 v3, v7, v6 offset0:72 offset1:144
	s_waitcnt lgkmcnt(0)
	; wave barrier
	ds_read2_b32 v[4:5], v3 offset1:36
	ds_read2_b32 v[6:7], v18 offset1:36
	ds_read2_b32 v[8:9], v3 offset0:72 offset1:144
	ds_read2_b32 v[10:11], v19 offset0:8 offset1:44
	s_waitcnt lgkmcnt(2)
	v_div_scale_f32 v12, s[0:1], v7, v7, v4
	s_waitcnt lgkmcnt(0)
	v_div_scale_f32 v13, s[0:1], v11, v11, v8
	v_div_scale_f32 v14, vcc, v4, v7, v4
	v_rcp_f32_e32 v15, v12
	v_rcp_f32_e32 v16, v13
	v_fma_f32 v17, -v12, v15, 1.0
	v_fmac_f32_e32 v15, v17, v15
	v_fma_f32 v17, -v13, v16, 1.0
	v_fmac_f32_e32 v16, v17, v16
	v_mul_f32_e32 v17, v14, v15
	v_fma_f32 v20, -v12, v17, v14
	v_fmac_f32_e32 v17, v20, v15
	v_div_scale_f32 v20, s[0:1], v8, v11, v8
	v_fma_f32 v12, -v12, v17, v14
	v_div_fmas_f32 v17, v12, v15, v17
	s_mov_b64 vcc, s[0:1]
	v_mul_f32_e32 v21, v20, v16
	v_fma_f32 v22, -v13, v21, v20
	v_fmac_f32_e32 v21, v22, v16
	v_fma_f32 v13, -v13, v21, v20
	v_div_fmas_f32 v16, v13, v16, v21
	ds_read2_b32 v[12:13], v18 offset0:72 offset1:144
	ds_read2_b32 v[14:15], v19 offset0:80 offset1:152
	v_div_fixup_f32 v4, v17, v7, v4
	v_cmp_gt_u32_e32 vcc, 16, v0
	s_waitcnt lgkmcnt(0)
	v_fma_f32 v5, -v4, v12, v5
	; wave barrier
	v_div_fixup_f32 v7, v16, v11, v8
	v_fma_f32 v8, -v4, v13, v9
	v_mul_f32_e64 v4, v4, -v6
	v_fma_f32 v5, -v7, v10, v5
	v_fma_f32 v6, -v7, v15, v8
	v_mul_f32_e64 v7, v7, -v14
	ds_write2_b32 v3, v4, v5 offset1:36
	ds_write2_b32 v3, v7, v6 offset0:72 offset1:144
	s_waitcnt lgkmcnt(0)
	; wave barrier
	s_and_saveexec_b64 s[0:1], vcc
	s_cbranch_execz .LBB4_2
; %bb.1:
	v_add_u32_e32 v4, 0x120, v3
	v_add_u32_e32 v0, 0x90, v3
	ds_read_b32 v8, v4
	ds_read_b32 v9, v3 offset:64
	ds_read2_b32 v[4:5], v0 offset1:16
	s_waitcnt lgkmcnt(1)
	v_mul_f32_e32 v0, v8, v9
	s_waitcnt lgkmcnt(0)
	v_fma_f32 v0, v5, v4, -v0
	v_div_scale_f32 v6, s[2:3], v0, v0, 1.0
	v_div_scale_f32 v7, vcc, 1.0, v0, 1.0
	v_rcp_f32_e32 v10, v6
	v_fma_f32 v11, -v6, v10, 1.0
	v_fmac_f32_e32 v10, v11, v10
	v_mul_f32_e32 v11, v7, v10
	v_fma_f32 v12, -v6, v11, v7
	v_fmac_f32_e32 v11, v12, v10
	v_fma_f32 v6, -v6, v11, v7
	v_div_fmas_f32 v10, v6, v10, v11
	v_add_u32_e32 v6, 0x240, v3
	ds_read2_b32 v[6:7], v6 offset1:16
	s_waitcnt lgkmcnt(0)
	v_mul_f32_e32 v8, v8, v7
	v_mul_f32_e32 v9, v9, v6
	v_fma_f32 v5, v5, v6, -v8
	v_fma_f32 v4, v4, v7, -v9
	v_div_fixup_f32 v0, v10, v0, 1.0
	v_mul_f32_e32 v5, v0, v5
	v_mul_f32_e32 v0, v0, v4
	ds_write2_b32 v3, v5, v0 offset0:108 offset1:124
.LBB4_2:
	s_or_b64 exec, exec, s[0:1]
	s_waitcnt lgkmcnt(0)
	; wave barrier
	ds_read_b32 v0, v3 offset:432
	s_waitcnt lgkmcnt(0)
	global_store_dword v[1:2], v0, off
	s_endpgm
	.section	.rodata,"a",@progbits
	.p2align	6, 0x0
	.amdhsa_kernel _ZN9rocsparseL35gtsv_nopivot_pcr_pow2_shared_kernelILj32EfEEviiiPKT0_S3_S3_PS1_
		.amdhsa_group_segment_fixed_size 708
		.amdhsa_private_segment_fixed_size 0
		.amdhsa_kernarg_size 48
		.amdhsa_user_sgpr_count 6
		.amdhsa_user_sgpr_private_segment_buffer 1
		.amdhsa_user_sgpr_dispatch_ptr 0
		.amdhsa_user_sgpr_queue_ptr 0
		.amdhsa_user_sgpr_kernarg_segment_ptr 1
		.amdhsa_user_sgpr_dispatch_id 0
		.amdhsa_user_sgpr_flat_scratch_init 0
		.amdhsa_user_sgpr_private_segment_size 0
		.amdhsa_uses_dynamic_stack 0
		.amdhsa_system_sgpr_private_segment_wavefront_offset 0
		.amdhsa_system_sgpr_workgroup_id_x 1
		.amdhsa_system_sgpr_workgroup_id_y 0
		.amdhsa_system_sgpr_workgroup_id_z 0
		.amdhsa_system_sgpr_workgroup_info 0
		.amdhsa_system_vgpr_workitem_id 0
		.amdhsa_next_free_vgpr 23
		.amdhsa_next_free_sgpr 16
		.amdhsa_reserve_vcc 1
		.amdhsa_reserve_flat_scratch 0
		.amdhsa_float_round_mode_32 0
		.amdhsa_float_round_mode_16_64 0
		.amdhsa_float_denorm_mode_32 3
		.amdhsa_float_denorm_mode_16_64 3
		.amdhsa_dx10_clamp 1
		.amdhsa_ieee_mode 1
		.amdhsa_fp16_overflow 0
		.amdhsa_exception_fp_ieee_invalid_op 0
		.amdhsa_exception_fp_denorm_src 0
		.amdhsa_exception_fp_ieee_div_zero 0
		.amdhsa_exception_fp_ieee_overflow 0
		.amdhsa_exception_fp_ieee_underflow 0
		.amdhsa_exception_fp_ieee_inexact 0
		.amdhsa_exception_int_div_zero 0
	.end_amdhsa_kernel
	.section	.text._ZN9rocsparseL35gtsv_nopivot_pcr_pow2_shared_kernelILj32EfEEviiiPKT0_S3_S3_PS1_,"axG",@progbits,_ZN9rocsparseL35gtsv_nopivot_pcr_pow2_shared_kernelILj32EfEEviiiPKT0_S3_S3_PS1_,comdat
.Lfunc_end4:
	.size	_ZN9rocsparseL35gtsv_nopivot_pcr_pow2_shared_kernelILj32EfEEviiiPKT0_S3_S3_PS1_, .Lfunc_end4-_ZN9rocsparseL35gtsv_nopivot_pcr_pow2_shared_kernelILj32EfEEviiiPKT0_S3_S3_PS1_
                                        ; -- End function
	.set _ZN9rocsparseL35gtsv_nopivot_pcr_pow2_shared_kernelILj32EfEEviiiPKT0_S3_S3_PS1_.num_vgpr, 23
	.set _ZN9rocsparseL35gtsv_nopivot_pcr_pow2_shared_kernelILj32EfEEviiiPKT0_S3_S3_PS1_.num_agpr, 0
	.set _ZN9rocsparseL35gtsv_nopivot_pcr_pow2_shared_kernelILj32EfEEviiiPKT0_S3_S3_PS1_.numbered_sgpr, 16
	.set _ZN9rocsparseL35gtsv_nopivot_pcr_pow2_shared_kernelILj32EfEEviiiPKT0_S3_S3_PS1_.num_named_barrier, 0
	.set _ZN9rocsparseL35gtsv_nopivot_pcr_pow2_shared_kernelILj32EfEEviiiPKT0_S3_S3_PS1_.private_seg_size, 0
	.set _ZN9rocsparseL35gtsv_nopivot_pcr_pow2_shared_kernelILj32EfEEviiiPKT0_S3_S3_PS1_.uses_vcc, 1
	.set _ZN9rocsparseL35gtsv_nopivot_pcr_pow2_shared_kernelILj32EfEEviiiPKT0_S3_S3_PS1_.uses_flat_scratch, 0
	.set _ZN9rocsparseL35gtsv_nopivot_pcr_pow2_shared_kernelILj32EfEEviiiPKT0_S3_S3_PS1_.has_dyn_sized_stack, 0
	.set _ZN9rocsparseL35gtsv_nopivot_pcr_pow2_shared_kernelILj32EfEEviiiPKT0_S3_S3_PS1_.has_recursion, 0
	.set _ZN9rocsparseL35gtsv_nopivot_pcr_pow2_shared_kernelILj32EfEEviiiPKT0_S3_S3_PS1_.has_indirect_call, 0
	.section	.AMDGPU.csdata,"",@progbits
; Kernel info:
; codeLenInByte = 1536
; TotalNumSgprs: 20
; NumVgprs: 23
; ScratchSize: 0
; MemoryBound: 0
; FloatMode: 240
; IeeeMode: 1
; LDSByteSize: 708 bytes/workgroup (compile time only)
; SGPRBlocks: 2
; VGPRBlocks: 5
; NumSGPRsForWavesPerEU: 20
; NumVGPRsForWavesPerEU: 23
; Occupancy: 10
; WaveLimiterHint : 0
; COMPUTE_PGM_RSRC2:SCRATCH_EN: 0
; COMPUTE_PGM_RSRC2:USER_SGPR: 6
; COMPUTE_PGM_RSRC2:TRAP_HANDLER: 0
; COMPUTE_PGM_RSRC2:TGID_X_EN: 1
; COMPUTE_PGM_RSRC2:TGID_Y_EN: 0
; COMPUTE_PGM_RSRC2:TGID_Z_EN: 0
; COMPUTE_PGM_RSRC2:TIDIG_COMP_CNT: 0
	.section	.text._ZN9rocsparseL35gtsv_nopivot_pcr_pow2_shared_kernelILj64EfEEviiiPKT0_S3_S3_PS1_,"axG",@progbits,_ZN9rocsparseL35gtsv_nopivot_pcr_pow2_shared_kernelILj64EfEEviiiPKT0_S3_S3_PS1_,comdat
	.globl	_ZN9rocsparseL35gtsv_nopivot_pcr_pow2_shared_kernelILj64EfEEviiiPKT0_S3_S3_PS1_ ; -- Begin function _ZN9rocsparseL35gtsv_nopivot_pcr_pow2_shared_kernelILj64EfEEviiiPKT0_S3_S3_PS1_
	.p2align	8
	.type	_ZN9rocsparseL35gtsv_nopivot_pcr_pow2_shared_kernelILj64EfEEviiiPKT0_S3_S3_PS1_,@function
_ZN9rocsparseL35gtsv_nopivot_pcr_pow2_shared_kernelILj64EfEEviiiPKT0_S3_S3_PS1_: ; @_ZN9rocsparseL35gtsv_nopivot_pcr_pow2_shared_kernelILj64EfEEviiiPKT0_S3_S3_PS1_
; %bb.0:
	s_load_dwordx8 s[8:15], s[4:5], 0x10
	s_load_dword s0, s[4:5], 0x8
	v_mov_b32_e32 v2, 0
	v_lshlrev_b32_e32 v3, 2, v0
	v_sub_u32_e64 v8, v0, 1 clamp
	s_waitcnt lgkmcnt(0)
	v_mov_b32_e32 v7, s15
	s_mul_i32 s0, s0, s6
	v_add_u32_e32 v1, s0, v0
	v_lshlrev_b64 v[1:2], 2, v[1:2]
	global_load_dword v4, v3, s[8:9]
	global_load_dword v5, v3, s[10:11]
	;; [unrolled: 1-line block ×3, first 2 shown]
	v_add_co_u32_e32 v1, vcc, s14, v1
	v_addc_co_u32_e32 v2, vcc, v7, v2, vcc
	global_load_dword v7, v[1:2], off
	v_add_u32_e32 v16, 0x200, v3
	v_lshlrev_b32_e32 v12, 2, v8
	v_min_u32_e32 v8, 62, v0
	v_lshlrev_b32_e32 v17, 2, v8
	s_waitcnt vmcnt(2)
	ds_write2_b32 v3, v4, v5 offset1:68
	s_waitcnt vmcnt(0)
	ds_write2_b32 v16, v6, v7 offset0:8 offset1:144
	s_waitcnt lgkmcnt(0)
	; wave barrier
	ds_read2_b32 v[4:5], v3 offset1:68
	ds_read2_b32 v[6:7], v12 offset1:68
	ds_read2_b32 v[8:9], v16 offset0:8 offset1:144
	ds_read2_b32 v[10:11], v17 offset0:1 offset1:69
	v_add_u32_e32 v12, 0x200, v12
	s_waitcnt lgkmcnt(2)
	v_div_scale_f32 v13, s[0:1], v7, v7, v4
	v_div_scale_f32 v14, vcc, v4, v7, v4
	v_rcp_f32_e32 v15, v13
	v_fma_f32 v18, -v13, v15, 1.0
	v_fmac_f32_e32 v15, v18, v15
	v_mul_f32_e32 v18, v14, v15
	v_fma_f32 v19, -v13, v18, v14
	v_fmac_f32_e32 v18, v19, v15
	s_waitcnt lgkmcnt(0)
	v_div_scale_f32 v19, s[0:1], v11, v11, v8
	v_fma_f32 v13, -v13, v18, v14
	v_div_scale_f32 v14, s[0:1], v8, v11, v8
	v_div_fmas_f32 v18, v13, v15, v18
	s_mov_b64 vcc, s[0:1]
	v_rcp_f32_e32 v13, v19
	v_fma_f32 v15, -v19, v13, 1.0
	v_fmac_f32_e32 v13, v15, v13
	v_mul_f32_e32 v15, v14, v13
	v_fma_f32 v20, -v19, v15, v14
	v_fmac_f32_e32 v15, v20, v13
	v_fma_f32 v14, -v19, v15, v14
	v_div_fmas_f32 v19, v14, v13, v15
	v_sub_u32_e64 v13, v0, 2 clamp
	v_add_u32_e32 v14, 0x200, v17
	v_lshlrev_b32_e32 v20, 2, v13
	ds_read2_b32 v[12:13], v12 offset0:8 offset1:144
	ds_read2_b32 v[14:15], v14 offset0:9 offset1:145
	v_div_fixup_f32 v4, v18, v7, v4
	s_waitcnt lgkmcnt(0)
	; wave barrier
	v_fma_f32 v5, -v4, v12, v5
	v_div_fixup_f32 v7, v19, v11, v8
	v_fma_f32 v8, -v4, v13, v9
	v_mul_f32_e64 v4, v4, -v6
	v_fma_f32 v5, -v7, v10, v5
	v_fma_f32 v6, -v7, v15, v8
	v_mul_f32_e64 v7, v7, -v14
	ds_write2_b32 v3, v4, v5 offset1:68
	ds_write2_b32 v16, v7, v6 offset0:8 offset1:144
	s_waitcnt lgkmcnt(0)
	; wave barrier
	ds_read2_b32 v[4:5], v3 offset1:68
	ds_read2_b32 v[6:7], v20 offset1:68
	v_min_u32_e32 v8, 61, v0
	v_lshlrev_b32_e32 v15, 2, v8
	ds_read2_b32 v[8:9], v16 offset0:8 offset1:144
	ds_read2_b32 v[10:11], v15 offset0:2 offset1:70
	s_waitcnt lgkmcnt(2)
	v_div_scale_f32 v12, s[0:1], v7, v7, v4
	v_div_scale_f32 v13, vcc, v4, v7, v4
	v_rcp_f32_e32 v14, v12
	v_fma_f32 v17, -v12, v14, 1.0
	v_fmac_f32_e32 v14, v17, v14
	v_mul_f32_e32 v17, v13, v14
	v_fma_f32 v18, -v12, v17, v13
	v_fmac_f32_e32 v17, v18, v14
	s_waitcnt lgkmcnt(0)
	v_div_scale_f32 v18, s[0:1], v11, v11, v8
	v_fma_f32 v12, -v12, v17, v13
	v_div_scale_f32 v13, s[0:1], v8, v11, v8
	v_div_fmas_f32 v17, v12, v14, v17
	s_mov_b64 vcc, s[0:1]
	v_rcp_f32_e32 v12, v18
	v_fma_f32 v14, -v18, v12, 1.0
	v_fmac_f32_e32 v12, v14, v12
	v_mul_f32_e32 v14, v13, v12
	v_fma_f32 v19, -v18, v14, v13
	v_fmac_f32_e32 v14, v19, v12
	v_fma_f32 v13, -v18, v14, v13
	v_div_fmas_f32 v18, v13, v12, v14
	v_sub_u32_e64 v12, v0, 4 clamp
	v_lshlrev_b32_e32 v19, 2, v12
	v_add_u32_e32 v12, 0x200, v20
	v_add_u32_e32 v14, 0x200, v15
	ds_read2_b32 v[12:13], v12 offset0:8 offset1:144
	ds_read2_b32 v[14:15], v14 offset0:10 offset1:146
	v_div_fixup_f32 v4, v17, v7, v4
	s_waitcnt lgkmcnt(0)
	; wave barrier
	v_fma_f32 v5, -v4, v12, v5
	v_div_fixup_f32 v7, v18, v11, v8
	v_fma_f32 v8, -v4, v13, v9
	v_mul_f32_e64 v4, v4, -v6
	v_fma_f32 v5, -v7, v10, v5
	v_fma_f32 v6, -v7, v15, v8
	v_mul_f32_e64 v7, v7, -v14
	ds_write2_b32 v3, v4, v5 offset1:68
	ds_write2_b32 v16, v7, v6 offset0:8 offset1:144
	s_waitcnt lgkmcnt(0)
	; wave barrier
	ds_read2_b32 v[4:5], v3 offset1:68
	ds_read2_b32 v[6:7], v19 offset1:68
	v_min_u32_e32 v8, 59, v0
	v_lshlrev_b32_e32 v15, 2, v8
	ds_read2_b32 v[8:9], v16 offset0:8 offset1:144
	ds_read2_b32 v[10:11], v15 offset0:4 offset1:72
	s_waitcnt lgkmcnt(2)
	v_div_scale_f32 v12, s[0:1], v7, v7, v4
	v_div_scale_f32 v13, vcc, v4, v7, v4
	v_rcp_f32_e32 v14, v12
	v_fma_f32 v17, -v12, v14, 1.0
	v_fmac_f32_e32 v14, v17, v14
	v_mul_f32_e32 v17, v13, v14
	v_fma_f32 v18, -v12, v17, v13
	v_fmac_f32_e32 v17, v18, v14
	s_waitcnt lgkmcnt(0)
	v_div_scale_f32 v18, s[0:1], v11, v11, v8
	v_fma_f32 v12, -v12, v17, v13
	v_div_scale_f32 v13, s[0:1], v8, v11, v8
	v_div_fmas_f32 v17, v12, v14, v17
	s_mov_b64 vcc, s[0:1]
	v_rcp_f32_e32 v12, v18
	v_fma_f32 v14, -v18, v12, 1.0
	v_fmac_f32_e32 v12, v14, v12
	v_mul_f32_e32 v14, v13, v12
	v_fma_f32 v20, -v18, v14, v13
	v_fmac_f32_e32 v14, v20, v12
	v_fma_f32 v13, -v18, v14, v13
	v_div_fmas_f32 v18, v13, v12, v14
	v_sub_u32_e64 v12, v0, 8 clamp
	v_lshlrev_b32_e32 v20, 2, v12
	v_add_u32_e32 v12, 0x200, v19
	v_add_u32_e32 v14, 0x200, v15
	;; [unrolled: 49-line block ×3, first 2 shown]
	ds_read2_b32 v[12:13], v12 offset0:8 offset1:144
	ds_read2_b32 v[14:15], v14 offset0:16 offset1:152
	v_div_fixup_f32 v4, v17, v7, v4
	s_waitcnt lgkmcnt(0)
	; wave barrier
	v_fma_f32 v5, -v4, v12, v5
	v_div_fixup_f32 v7, v18, v11, v8
	v_fma_f32 v8, -v4, v13, v9
	v_mul_f32_e64 v4, v4, -v6
	v_fma_f32 v5, -v7, v10, v5
	v_fma_f32 v6, -v7, v15, v8
	v_mul_f32_e64 v7, v7, -v14
	ds_write2_b32 v3, v4, v5 offset1:68
	ds_write2_b32 v16, v7, v6 offset0:8 offset1:144
	s_waitcnt lgkmcnt(0)
	; wave barrier
	ds_read2_b32 v[4:5], v3 offset1:68
	ds_read2_b32 v[6:7], v19 offset1:68
	v_min_u32_e32 v8, 47, v0
	v_lshlrev_b32_e32 v15, 2, v8
	ds_read2_b32 v[8:9], v16 offset0:8 offset1:144
	ds_read2_b32 v[10:11], v15 offset0:16 offset1:84
	s_waitcnt lgkmcnt(2)
	v_div_scale_f32 v12, s[0:1], v7, v7, v4
	v_div_scale_f32 v13, vcc, v4, v7, v4
	v_rcp_f32_e32 v14, v12
	v_fma_f32 v17, -v12, v14, 1.0
	v_fmac_f32_e32 v14, v17, v14
	v_mul_f32_e32 v17, v13, v14
	v_fma_f32 v18, -v12, v17, v13
	v_fmac_f32_e32 v17, v18, v14
	s_waitcnt lgkmcnt(0)
	v_div_scale_f32 v18, s[0:1], v11, v11, v8
	v_fma_f32 v12, -v12, v17, v13
	v_div_scale_f32 v13, s[0:1], v8, v11, v8
	v_div_fmas_f32 v17, v12, v14, v17
	s_mov_b64 vcc, s[0:1]
	v_rcp_f32_e32 v12, v18
	v_fma_f32 v14, -v18, v12, 1.0
	v_fmac_f32_e32 v12, v14, v12
	v_mul_f32_e32 v14, v13, v12
	v_fma_f32 v20, -v18, v14, v13
	v_fmac_f32_e32 v14, v20, v12
	v_fma_f32 v13, -v18, v14, v13
	v_div_fmas_f32 v18, v13, v12, v14
	v_add_u32_e32 v12, 0x200, v19
	v_add_u32_e32 v14, 0x200, v15
	ds_read2_b32 v[12:13], v12 offset0:8 offset1:144
	ds_read2_b32 v[14:15], v14 offset0:24 offset1:160
	v_div_fixup_f32 v4, v17, v7, v4
	v_cmp_gt_u32_e32 vcc, 32, v0
	s_waitcnt lgkmcnt(0)
	v_fma_f32 v5, -v4, v12, v5
	; wave barrier
	v_div_fixup_f32 v7, v18, v11, v8
	v_fma_f32 v8, -v4, v13, v9
	v_mul_f32_e64 v4, v4, -v6
	v_fma_f32 v5, -v7, v10, v5
	v_fma_f32 v6, -v7, v15, v8
	v_mul_f32_e64 v7, v7, -v14
	ds_write2_b32 v3, v4, v5 offset1:68
	ds_write2_b32 v16, v7, v6 offset0:8 offset1:144
	s_waitcnt lgkmcnt(0)
	; wave barrier
	s_and_saveexec_b64 s[0:1], vcc
	s_cbranch_execz .LBB5_2
; %bb.1:
	v_add_u32_e32 v4, 0x220, v3
	v_add_u32_e32 v0, 0x110, v3
	ds_read_b32 v8, v4
	ds_read_b32 v9, v3 offset:128
	ds_read2_b32 v[4:5], v0 offset1:32
	s_waitcnt lgkmcnt(1)
	v_mul_f32_e32 v0, v8, v9
	s_waitcnt lgkmcnt(0)
	v_fma_f32 v0, v5, v4, -v0
	v_div_scale_f32 v6, s[2:3], v0, v0, 1.0
	v_div_scale_f32 v7, vcc, 1.0, v0, 1.0
	v_rcp_f32_e32 v10, v6
	v_fma_f32 v11, -v6, v10, 1.0
	v_fmac_f32_e32 v10, v11, v10
	v_mul_f32_e32 v11, v7, v10
	v_fma_f32 v12, -v6, v11, v7
	v_fmac_f32_e32 v11, v12, v10
	v_fma_f32 v6, -v6, v11, v7
	v_div_fmas_f32 v10, v6, v10, v11
	v_add_u32_e32 v6, 0x440, v3
	ds_read2_b32 v[6:7], v6 offset1:32
	s_waitcnt lgkmcnt(0)
	v_mul_f32_e32 v8, v8, v7
	v_mul_f32_e32 v9, v9, v6
	v_fma_f32 v5, v5, v6, -v8
	v_fma_f32 v4, v4, v7, -v9
	v_div_fixup_f32 v0, v10, v0, 1.0
	v_mul_f32_e32 v5, v0, v5
	v_mul_f32_e32 v0, v0, v4
	ds_write2_b32 v3, v5, v0 offset0:204 offset1:236
.LBB5_2:
	s_or_b64 exec, exec, s[0:1]
	s_waitcnt lgkmcnt(0)
	; wave barrier
	ds_read_b32 v0, v3 offset:816
	s_waitcnt lgkmcnt(0)
	global_store_dword v[1:2], v0, off
	s_endpgm
	.section	.rodata,"a",@progbits
	.p2align	6, 0x0
	.amdhsa_kernel _ZN9rocsparseL35gtsv_nopivot_pcr_pow2_shared_kernelILj64EfEEviiiPKT0_S3_S3_PS1_
		.amdhsa_group_segment_fixed_size 1348
		.amdhsa_private_segment_fixed_size 0
		.amdhsa_kernarg_size 48
		.amdhsa_user_sgpr_count 6
		.amdhsa_user_sgpr_private_segment_buffer 1
		.amdhsa_user_sgpr_dispatch_ptr 0
		.amdhsa_user_sgpr_queue_ptr 0
		.amdhsa_user_sgpr_kernarg_segment_ptr 1
		.amdhsa_user_sgpr_dispatch_id 0
		.amdhsa_user_sgpr_flat_scratch_init 0
		.amdhsa_user_sgpr_private_segment_size 0
		.amdhsa_uses_dynamic_stack 0
		.amdhsa_system_sgpr_private_segment_wavefront_offset 0
		.amdhsa_system_sgpr_workgroup_id_x 1
		.amdhsa_system_sgpr_workgroup_id_y 0
		.amdhsa_system_sgpr_workgroup_id_z 0
		.amdhsa_system_sgpr_workgroup_info 0
		.amdhsa_system_vgpr_workitem_id 0
		.amdhsa_next_free_vgpr 21
		.amdhsa_next_free_sgpr 16
		.amdhsa_reserve_vcc 1
		.amdhsa_reserve_flat_scratch 0
		.amdhsa_float_round_mode_32 0
		.amdhsa_float_round_mode_16_64 0
		.amdhsa_float_denorm_mode_32 3
		.amdhsa_float_denorm_mode_16_64 3
		.amdhsa_dx10_clamp 1
		.amdhsa_ieee_mode 1
		.amdhsa_fp16_overflow 0
		.amdhsa_exception_fp_ieee_invalid_op 0
		.amdhsa_exception_fp_denorm_src 0
		.amdhsa_exception_fp_ieee_div_zero 0
		.amdhsa_exception_fp_ieee_overflow 0
		.amdhsa_exception_fp_ieee_underflow 0
		.amdhsa_exception_fp_ieee_inexact 0
		.amdhsa_exception_int_div_zero 0
	.end_amdhsa_kernel
	.section	.text._ZN9rocsparseL35gtsv_nopivot_pcr_pow2_shared_kernelILj64EfEEviiiPKT0_S3_S3_PS1_,"axG",@progbits,_ZN9rocsparseL35gtsv_nopivot_pcr_pow2_shared_kernelILj64EfEEviiiPKT0_S3_S3_PS1_,comdat
.Lfunc_end5:
	.size	_ZN9rocsparseL35gtsv_nopivot_pcr_pow2_shared_kernelILj64EfEEviiiPKT0_S3_S3_PS1_, .Lfunc_end5-_ZN9rocsparseL35gtsv_nopivot_pcr_pow2_shared_kernelILj64EfEEviiiPKT0_S3_S3_PS1_
                                        ; -- End function
	.set _ZN9rocsparseL35gtsv_nopivot_pcr_pow2_shared_kernelILj64EfEEviiiPKT0_S3_S3_PS1_.num_vgpr, 21
	.set _ZN9rocsparseL35gtsv_nopivot_pcr_pow2_shared_kernelILj64EfEEviiiPKT0_S3_S3_PS1_.num_agpr, 0
	.set _ZN9rocsparseL35gtsv_nopivot_pcr_pow2_shared_kernelILj64EfEEviiiPKT0_S3_S3_PS1_.numbered_sgpr, 16
	.set _ZN9rocsparseL35gtsv_nopivot_pcr_pow2_shared_kernelILj64EfEEviiiPKT0_S3_S3_PS1_.num_named_barrier, 0
	.set _ZN9rocsparseL35gtsv_nopivot_pcr_pow2_shared_kernelILj64EfEEviiiPKT0_S3_S3_PS1_.private_seg_size, 0
	.set _ZN9rocsparseL35gtsv_nopivot_pcr_pow2_shared_kernelILj64EfEEviiiPKT0_S3_S3_PS1_.uses_vcc, 1
	.set _ZN9rocsparseL35gtsv_nopivot_pcr_pow2_shared_kernelILj64EfEEviiiPKT0_S3_S3_PS1_.uses_flat_scratch, 0
	.set _ZN9rocsparseL35gtsv_nopivot_pcr_pow2_shared_kernelILj64EfEEviiiPKT0_S3_S3_PS1_.has_dyn_sized_stack, 0
	.set _ZN9rocsparseL35gtsv_nopivot_pcr_pow2_shared_kernelILj64EfEEviiiPKT0_S3_S3_PS1_.has_recursion, 0
	.set _ZN9rocsparseL35gtsv_nopivot_pcr_pow2_shared_kernelILj64EfEEviiiPKT0_S3_S3_PS1_.has_indirect_call, 0
	.section	.AMDGPU.csdata,"",@progbits
; Kernel info:
; codeLenInByte = 1920
; TotalNumSgprs: 20
; NumVgprs: 21
; ScratchSize: 0
; MemoryBound: 0
; FloatMode: 240
; IeeeMode: 1
; LDSByteSize: 1348 bytes/workgroup (compile time only)
; SGPRBlocks: 2
; VGPRBlocks: 5
; NumSGPRsForWavesPerEU: 20
; NumVGPRsForWavesPerEU: 21
; Occupancy: 10
; WaveLimiterHint : 0
; COMPUTE_PGM_RSRC2:SCRATCH_EN: 0
; COMPUTE_PGM_RSRC2:USER_SGPR: 6
; COMPUTE_PGM_RSRC2:TRAP_HANDLER: 0
; COMPUTE_PGM_RSRC2:TGID_X_EN: 1
; COMPUTE_PGM_RSRC2:TGID_Y_EN: 0
; COMPUTE_PGM_RSRC2:TGID_Z_EN: 0
; COMPUTE_PGM_RSRC2:TIDIG_COMP_CNT: 0
	.section	.text._ZN9rocsparseL37gtsv_nopivot_crpcr_pow2_shared_kernelILj64ELj64EfEEviiiPKT1_S3_S3_PS1_,"axG",@progbits,_ZN9rocsparseL37gtsv_nopivot_crpcr_pow2_shared_kernelILj64ELj64EfEEviiiPKT1_S3_S3_PS1_,comdat
	.globl	_ZN9rocsparseL37gtsv_nopivot_crpcr_pow2_shared_kernelILj64ELj64EfEEviiiPKT1_S3_S3_PS1_ ; -- Begin function _ZN9rocsparseL37gtsv_nopivot_crpcr_pow2_shared_kernelILj64ELj64EfEEviiiPKT1_S3_S3_PS1_
	.p2align	8
	.type	_ZN9rocsparseL37gtsv_nopivot_crpcr_pow2_shared_kernelILj64ELj64EfEEviiiPKT1_S3_S3_PS1_,@function
_ZN9rocsparseL37gtsv_nopivot_crpcr_pow2_shared_kernelILj64ELj64EfEEviiiPKT1_S3_S3_PS1_: ; @_ZN9rocsparseL37gtsv_nopivot_crpcr_pow2_shared_kernelILj64ELj64EfEEviiiPKT1_S3_S3_PS1_
; %bb.0:
	s_load_dwordx8 s[8:15], s[4:5], 0x10
	s_load_dword s0, s[4:5], 0x8
	v_mov_b32_e32 v4, 0
	v_lshlrev_b32_e32 v5, 2, v0
	s_waitcnt lgkmcnt(0)
	global_load_dword v6, v5, s[8:9]
	global_load_dword v7, v5, s[8:9] offset:256
	global_load_dword v8, v5, s[10:11]
	global_load_dword v9, v5, s[10:11] offset:256
	global_load_dword v10, v5, s[12:13] offset:256
	global_load_dword v11, v5, s[12:13]
	s_mul_i32 s0, s0, s6
	v_add_u32_e32 v3, s0, v0
	v_lshlrev_b64 v[1:2], 2, v[3:4]
	v_add_u32_e32 v3, 64, v3
	v_mov_b32_e32 v12, s15
	v_add_co_u32_e32 v1, vcc, s14, v1
	v_lshlrev_b64 v[3:4], 2, v[3:4]
	v_addc_co_u32_e32 v2, vcc, v12, v2, vcc
	v_add_co_u32_e32 v3, vcc, s14, v3
	v_addc_co_u32_e32 v4, vcc, v12, v4, vcc
	global_load_dword v12, v[1:2], off
	global_load_dword v13, v[3:4], off
	v_cmp_gt_u32_e64 s[0:1], 64, v0
	v_cmp_lt_u32_e32 vcc, 63, v0
	s_waitcnt vmcnt(6)
	ds_write2st64_b32 v5, v6, v7 offset1:1
	s_waitcnt vmcnt(4)
	ds_write2st64_b32 v5, v8, v9 offset0:2 offset1:3
	s_waitcnt vmcnt(2)
	ds_write2st64_b32 v5, v11, v10 offset0:4 offset1:5
	;; [unrolled: 2-line block ×3, first 2 shown]
	s_waitcnt lgkmcnt(0)
	; wave barrier
	s_and_saveexec_b64 s[2:3], vcc
	s_xor_b64 s[2:3], exec, s[2:3]
	s_or_saveexec_b64 s[4:5], s[2:3]
	v_or_b32_e32 v8, 0x400, v5
	v_or_b32_e32 v7, 0x800, v5
	v_lshlrev_b32_e32 v6, 1, v0
	s_xor_b64 exec, exec, s[4:5]
	s_cbranch_execz .LBB6_2
; %bb.1:
	v_or_b32_e32 v9, 0x200, v5
	v_min_u32_e32 v13, 0x7d, v6
	v_add_u32_e32 v21, v5, v5
	v_add_u32_e32 v22, v9, v5
	ds_read_b64 v[9:10], v21
	ds_read_b64 v[11:12], v22
	v_lshlrev_b32_e32 v19, 2, v13
	v_add_u32_e32 v23, v8, v5
	ds_read2_b32 v[13:14], v19 offset0:2 offset1:130
	v_add_u32_e32 v24, v7, v5
	ds_read_b64 v[15:16], v23
	ds_read_b64 v[17:18], v24
	s_waitcnt lgkmcnt(3)
	v_div_scale_f32 v20, s[2:3], v11, v11, v10
	v_div_scale_f32 v26, vcc, v10, v11, v10
	s_waitcnt lgkmcnt(1)
	v_div_scale_f32 v25, s[2:3], v14, v14, v16
	v_div_scale_f32 v27, s[2:3], v16, v14, v16
	v_add_u32_e32 v19, 8, v19
	v_rcp_f32_e32 v28, v20
	v_rcp_f32_e32 v29, v25
	v_fma_f32 v30, -v20, v28, 1.0
	v_fmac_f32_e32 v28, v30, v28
	v_mul_f32_e32 v30, v26, v28
	v_fma_f32 v31, -v25, v29, 1.0
	v_fmac_f32_e32 v29, v31, v29
	v_mul_f32_e32 v31, v27, v29
	v_fma_f32 v32, -v20, v30, v26
	v_fma_f32 v33, -v25, v31, v27
	v_fmac_f32_e32 v30, v32, v28
	v_fma_f32 v20, -v20, v30, v26
	v_fmac_f32_e32 v31, v33, v29
	v_div_fmas_f32 v26, v20, v28, v30
	v_fma_f32 v20, -v25, v31, v27
	s_mov_b64 vcc, s[2:3]
	v_div_fmas_f32 v25, v20, v29, v31
	ds_read2st64_b32 v[19:20], v19 offset0:4 offset1:8
	v_div_fixup_f32 v10, v26, v11, v10
	v_fma_f32 v12, -v10, v15, v12
	v_mul_f32_e64 v9, v10, -v9
	v_div_fixup_f32 v11, v25, v14, v16
	s_waitcnt lgkmcnt(1)
	v_fma_f32 v14, -v10, v17, v18
	v_fma_f32 v10, -v11, v13, v12
	s_waitcnt lgkmcnt(0)
	v_fma_f32 v12, -v11, v20, v14
	ds_write_b32 v21, v9 offset:4
	v_mul_f32_e64 v9, v11, -v19
	ds_write_b32 v22, v10 offset:4
	ds_write_b32 v24, v12 offset:4
	;; [unrolled: 1-line block ×3, first 2 shown]
.LBB6_2:
	s_or_b64 exec, exec, s[4:5]
	v_lshlrev_b32_e32 v6, 2, v6
	v_add_u32_e32 v8, v8, v5
	s_waitcnt lgkmcnt(0)
	; wave barrier
	ds_read2_b32 v[9:10], v6 offset0:1 offset1:129
	v_add_u32_e32 v7, v7, v5
	ds_read_b32 v8, v8 offset:4
	ds_read_b32 v11, v7 offset:4
	v_lshlrev_b32_e32 v7, 2, v0
	s_waitcnt lgkmcnt(2)
	ds_write2st64_b32 v7, v9, v10 offset0:10 offset1:11
	s_waitcnt lgkmcnt(1)
	ds_write2st64_b32 v7, v8, v11 offset0:12 offset1:14
	v_sub_u32_e64 v10, v0, 1 clamp
	v_lshlrev_b32_e32 v16, 2, v10
	s_waitcnt lgkmcnt(0)
	; wave barrier
	ds_read2st64_b32 v[8:9], v7 offset0:10 offset1:11
	ds_read2st64_b32 v[10:11], v16 offset0:10 offset1:11
	v_min_u32_e32 v14, 62, v0
	v_lshlrev_b32_e32 v14, 2, v14
	v_add_u32_e32 v18, 4, v14
	ds_read2st64_b32 v[12:13], v7 offset0:12 offset1:14
	s_waitcnt lgkmcnt(1)
	v_div_scale_f32 v17, s[2:3], v11, v11, v8
	ds_read2st64_b32 v[14:15], v18 offset0:10 offset1:11
	v_div_scale_f32 v19, vcc, v8, v11, v8
	s_waitcnt lgkmcnt(0)
	v_div_scale_f32 v20, s[2:3], v15, v15, v12
	v_div_scale_f32 v21, s[2:3], v12, v15, v12
	v_rcp_f32_e32 v22, v17
	v_fma_f32 v23, -v17, v22, 1.0
	v_fmac_f32_e32 v22, v23, v22
	v_mul_f32_e32 v23, v19, v22
	v_fma_f32 v24, -v17, v23, v19
	v_fmac_f32_e32 v23, v24, v22
	v_rcp_f32_e32 v24, v20
	v_fma_f32 v17, -v17, v23, v19
	v_div_fmas_f32 v22, v17, v22, v23
	s_mov_b64 vcc, s[2:3]
	v_fma_f32 v17, -v20, v24, 1.0
	v_fmac_f32_e32 v24, v17, v24
	v_mul_f32_e32 v17, v21, v24
	v_fma_f32 v19, -v20, v17, v21
	v_fmac_f32_e32 v17, v19, v24
	v_fma_f32 v19, -v20, v17, v21
	v_div_fmas_f32 v20, v19, v24, v17
	ds_read2st64_b32 v[16:17], v16 offset0:12 offset1:14
	ds_read2st64_b32 v[18:19], v18 offset0:12 offset1:14
	s_waitcnt lgkmcnt(0)
	; wave barrier
	v_div_fixup_f32 v8, v22, v11, v8
	v_fma_f32 v9, -v8, v16, v9
	v_div_fixup_f32 v11, v20, v15, v12
	v_fma_f32 v12, -v8, v17, v13
	v_fma_f32 v9, -v11, v14, v9
	v_mul_f32_e64 v8, v8, -v10
	v_mul_f32_e64 v10, v11, -v18
	v_fma_f32 v12, -v11, v19, v12
	ds_write2st64_b32 v7, v8, v9 offset0:10 offset1:11
	ds_write2st64_b32 v7, v10, v12 offset0:12 offset1:14
	v_sub_u32_e64 v10, v0, 2 clamp
	v_lshlrev_b32_e32 v16, 2, v10
	s_waitcnt lgkmcnt(0)
	; wave barrier
	ds_read2st64_b32 v[8:9], v7 offset0:10 offset1:11
	ds_read2st64_b32 v[10:11], v16 offset0:10 offset1:11
	v_min_u32_e32 v14, 61, v0
	v_lshlrev_b32_e32 v14, 2, v14
	v_add_u32_e32 v18, 8, v14
	ds_read2st64_b32 v[12:13], v7 offset0:12 offset1:14
	s_waitcnt lgkmcnt(1)
	v_div_scale_f32 v17, s[2:3], v11, v11, v8
	ds_read2st64_b32 v[14:15], v18 offset0:10 offset1:11
	v_div_scale_f32 v19, vcc, v8, v11, v8
	s_waitcnt lgkmcnt(0)
	v_div_scale_f32 v20, s[2:3], v15, v15, v12
	v_div_scale_f32 v21, s[2:3], v12, v15, v12
	v_rcp_f32_e32 v22, v17
	v_fma_f32 v23, -v17, v22, 1.0
	v_fmac_f32_e32 v22, v23, v22
	v_mul_f32_e32 v23, v19, v22
	v_fma_f32 v24, -v17, v23, v19
	v_fmac_f32_e32 v23, v24, v22
	v_rcp_f32_e32 v24, v20
	v_fma_f32 v17, -v17, v23, v19
	v_div_fmas_f32 v22, v17, v22, v23
	s_mov_b64 vcc, s[2:3]
	v_fma_f32 v17, -v20, v24, 1.0
	v_fmac_f32_e32 v24, v17, v24
	v_mul_f32_e32 v17, v21, v24
	v_fma_f32 v19, -v20, v17, v21
	v_fmac_f32_e32 v17, v19, v24
	v_fma_f32 v19, -v20, v17, v21
	v_div_fmas_f32 v20, v19, v24, v17
	ds_read2st64_b32 v[16:17], v16 offset0:12 offset1:14
	ds_read2st64_b32 v[18:19], v18 offset0:12 offset1:14
	s_waitcnt lgkmcnt(0)
	; wave barrier
	v_div_fixup_f32 v8, v22, v11, v8
	v_fma_f32 v9, -v8, v16, v9
	v_div_fixup_f32 v11, v20, v15, v12
	v_fma_f32 v12, -v8, v17, v13
	v_fma_f32 v9, -v11, v14, v9
	v_mul_f32_e64 v8, v8, -v10
	v_mul_f32_e64 v10, v11, -v18
	v_fma_f32 v12, -v11, v19, v12
	ds_write2st64_b32 v7, v8, v9 offset0:10 offset1:11
	;; [unrolled: 48-line block ×4, first 2 shown]
	ds_write2st64_b32 v7, v10, v12 offset0:12 offset1:14
	v_sub_u32_e64 v10, v0, 16 clamp
	v_lshlrev_b32_e32 v16, 2, v10
	s_waitcnt lgkmcnt(0)
	; wave barrier
	ds_read2st64_b32 v[8:9], v7 offset0:10 offset1:11
	ds_read2st64_b32 v[10:11], v16 offset0:10 offset1:11
	v_min_u32_e32 v14, 47, v0
	v_lshlrev_b32_e32 v14, 2, v14
	v_add_u32_e32 v18, 64, v14
	ds_read2st64_b32 v[12:13], v7 offset0:12 offset1:14
	s_waitcnt lgkmcnt(1)
	v_div_scale_f32 v17, s[2:3], v11, v11, v8
	ds_read2st64_b32 v[14:15], v18 offset0:10 offset1:11
	v_div_scale_f32 v19, vcc, v8, v11, v8
	s_waitcnt lgkmcnt(0)
	v_div_scale_f32 v20, s[2:3], v15, v15, v12
	v_div_scale_f32 v21, s[2:3], v12, v15, v12
	v_rcp_f32_e32 v22, v17
	v_fma_f32 v23, -v17, v22, 1.0
	v_fmac_f32_e32 v22, v23, v22
	v_mul_f32_e32 v23, v19, v22
	v_fma_f32 v24, -v17, v23, v19
	v_fmac_f32_e32 v23, v24, v22
	v_rcp_f32_e32 v24, v20
	v_fma_f32 v17, -v17, v23, v19
	v_div_fmas_f32 v19, v17, v22, v23
	s_mov_b64 vcc, s[2:3]
	v_fma_f32 v17, -v20, v24, 1.0
	v_fmac_f32_e32 v24, v17, v24
	v_mul_f32_e32 v17, v21, v24
	v_fma_f32 v22, -v20, v17, v21
	v_fmac_f32_e32 v17, v22, v24
	v_fma_f32 v20, -v20, v17, v21
	v_div_fmas_f32 v20, v20, v24, v17
	ds_read2st64_b32 v[16:17], v16 offset0:12 offset1:14
	v_cmp_gt_u32_e32 vcc, 32, v0
	v_div_fixup_f32 v8, v19, v11, v8
	ds_read2st64_b32 v[18:19], v18 offset0:12 offset1:14
	s_waitcnt lgkmcnt(1)
	v_fma_f32 v9, -v8, v16, v9
	s_waitcnt lgkmcnt(0)
	; wave barrier
	v_div_fixup_f32 v11, v20, v15, v12
	v_fma_f32 v9, -v11, v14, v9
	v_fma_f32 v12, -v8, v17, v13
	v_mul_f32_e64 v8, v8, -v10
	v_fma_f32 v12, -v11, v19, v12
	v_mul_f32_e64 v10, v11, -v18
	ds_write2st64_b32 v7, v8, v9 offset0:10 offset1:11
	ds_write2st64_b32 v7, v10, v12 offset0:12 offset1:14
	s_waitcnt lgkmcnt(0)
	; wave barrier
	s_and_saveexec_b64 s[2:3], vcc
	s_cbranch_execz .LBB6_4
; %bb.3:
	v_or_b32_e32 v8, 0xa00, v7
	v_or_b32_e32 v9, 0xb00, v7
	v_or_b32_e32 v10, 0xc00, v7
	ds_read_b32 v12, v10
	ds_read_b32 v13, v8 offset:128
	ds_read2_b32 v[8:9], v9 offset1:32
	s_waitcnt lgkmcnt(1)
	v_mul_f32_e32 v10, v12, v13
	s_waitcnt lgkmcnt(0)
	v_fma_f32 v14, v9, v8, -v10
	v_div_scale_f32 v10, s[4:5], v14, v14, 1.0
	v_div_scale_f32 v11, vcc, 1.0, v14, 1.0
	v_rcp_f32_e32 v15, v10
	v_fma_f32 v16, -v10, v15, 1.0
	v_fmac_f32_e32 v15, v16, v15
	v_mul_f32_e32 v16, v11, v15
	v_fma_f32 v17, -v10, v16, v11
	v_fmac_f32_e32 v16, v17, v15
	v_fma_f32 v10, -v10, v16, v11
	v_div_fmas_f32 v15, v10, v15, v16
	v_or_b32_e32 v10, 0xe00, v7
	ds_read2_b32 v[10:11], v10 offset1:32
	s_waitcnt lgkmcnt(0)
	v_mul_f32_e32 v12, v12, v11
	v_mul_f32_e32 v13, v13, v10
	v_fma_f32 v9, v9, v10, -v12
	v_fma_f32 v8, v8, v11, -v13
	v_div_fixup_f32 v10, v15, v14, 1.0
	v_mul_f32_e32 v9, v10, v9
	v_mul_f32_e32 v8, v10, v8
	v_add_u32_e32 v10, 0xc00, v7
	ds_write2_b32 v10, v9, v8 offset0:64 offset1:96
.LBB6_4:
	s_or_b64 exec, exec, s[2:3]
	s_waitcnt lgkmcnt(0)
	; wave barrier
	ds_read_b32 v8, v7 offset:3328
	v_lshlrev_b32_e32 v9, 3, v0
	v_or_b32_e32 v7, 0x600, v9
	s_waitcnt lgkmcnt(0)
	ds_write_b32 v9, v8 offset:1540
	s_waitcnt lgkmcnt(0)
	; wave barrier
	s_and_saveexec_b64 s[2:3], s[0:1]
	s_cbranch_execz .LBB6_9
; %bb.5:
	ds_read_b32 v8, v6 offset:2048
	v_or_b32_e32 v9, 0x200, v6
	v_cmp_ne_u32_e32 vcc, 0, v0
	s_and_saveexec_b64 s[0:1], vcc
	s_xor_b64 s[0:1], exec, s[0:1]
	s_cbranch_execz .LBB6_7
; %bb.6:
	v_add_u32_e32 v0, -4, v7
	ds_read_b32 v10, v6
	ds_read_b32 v6, v6 offset:1024
	ds_read_b32 v9, v9
	ds_read_b32 v0, v0
	ds_read_b32 v11, v7 offset:4
	s_waitcnt lgkmcnt(1)
	v_fma_f32 v0, -v10, v0, v8
	s_waitcnt lgkmcnt(0)
	v_fma_f32 v0, -v6, v11, v0
	v_div_scale_f32 v6, s[4:5], v9, v9, v0
	v_div_scale_f32 v8, vcc, v0, v9, v0
	v_rcp_f32_e32 v10, v6
	v_fma_f32 v11, -v6, v10, 1.0
	v_fmac_f32_e32 v10, v11, v10
	v_mul_f32_e32 v11, v8, v10
	v_fma_f32 v12, -v6, v11, v8
	v_fmac_f32_e32 v11, v12, v10
	v_fma_f32 v6, -v6, v11, v8
	v_div_fmas_f32 v6, v6, v10, v11
                                        ; implicit-def: $vgpr8
	v_div_fixup_f32 v0, v6, v9, v0
	ds_write_b32 v7, v0
                                        ; implicit-def: $vgpr6
                                        ; implicit-def: $vgpr9
.LBB6_7:
	s_andn2_saveexec_b64 s[0:1], s[0:1]
	s_cbranch_execz .LBB6_9
; %bb.8:
	ds_read_b32 v0, v6 offset:1024
	ds_read_b32 v6, v9
	ds_read_b32 v9, v7 offset:4
	s_waitcnt lgkmcnt(0)
	v_fma_f32 v0, -v0, v9, v8
	v_div_scale_f32 v8, s[0:1], v6, v6, v0
	v_div_scale_f32 v9, vcc, v0, v6, v0
	v_rcp_f32_e32 v10, v8
	v_fma_f32 v11, -v8, v10, 1.0
	v_fmac_f32_e32 v10, v11, v10
	v_mul_f32_e32 v11, v9, v10
	v_fma_f32 v12, -v8, v11, v9
	v_fmac_f32_e32 v11, v12, v10
	v_fma_f32 v8, -v8, v11, v9
	v_div_fmas_f32 v8, v8, v10, v11
	v_div_fixup_f32 v0, v8, v6, v0
	ds_write_b32 v7, v0
.LBB6_9:
	s_or_b64 exec, exec, s[2:3]
	v_sub_u32_e32 v0, v7, v5
	s_waitcnt lgkmcnt(0)
	; wave barrier
	ds_read2st64_b32 v[5:6], v0 offset1:1
	s_waitcnt lgkmcnt(0)
	global_store_dword v[1:2], v5, off
	global_store_dword v[3:4], v6, off
	s_endpgm
	.section	.rodata,"a",@progbits
	.p2align	6, 0x0
	.amdhsa_kernel _ZN9rocsparseL37gtsv_nopivot_crpcr_pow2_shared_kernelILj64ELj64EfEEviiiPKT1_S3_S3_PS1_
		.amdhsa_group_segment_fixed_size 3840
		.amdhsa_private_segment_fixed_size 0
		.amdhsa_kernarg_size 48
		.amdhsa_user_sgpr_count 6
		.amdhsa_user_sgpr_private_segment_buffer 1
		.amdhsa_user_sgpr_dispatch_ptr 0
		.amdhsa_user_sgpr_queue_ptr 0
		.amdhsa_user_sgpr_kernarg_segment_ptr 1
		.amdhsa_user_sgpr_dispatch_id 0
		.amdhsa_user_sgpr_flat_scratch_init 0
		.amdhsa_user_sgpr_private_segment_size 0
		.amdhsa_uses_dynamic_stack 0
		.amdhsa_system_sgpr_private_segment_wavefront_offset 0
		.amdhsa_system_sgpr_workgroup_id_x 1
		.amdhsa_system_sgpr_workgroup_id_y 0
		.amdhsa_system_sgpr_workgroup_id_z 0
		.amdhsa_system_sgpr_workgroup_info 0
		.amdhsa_system_vgpr_workitem_id 0
		.amdhsa_next_free_vgpr 41
		.amdhsa_next_free_sgpr 98
		.amdhsa_reserve_vcc 1
		.amdhsa_reserve_flat_scratch 0
		.amdhsa_float_round_mode_32 0
		.amdhsa_float_round_mode_16_64 0
		.amdhsa_float_denorm_mode_32 3
		.amdhsa_float_denorm_mode_16_64 3
		.amdhsa_dx10_clamp 1
		.amdhsa_ieee_mode 1
		.amdhsa_fp16_overflow 0
		.amdhsa_exception_fp_ieee_invalid_op 0
		.amdhsa_exception_fp_denorm_src 0
		.amdhsa_exception_fp_ieee_div_zero 0
		.amdhsa_exception_fp_ieee_overflow 0
		.amdhsa_exception_fp_ieee_underflow 0
		.amdhsa_exception_fp_ieee_inexact 0
		.amdhsa_exception_int_div_zero 0
	.end_amdhsa_kernel
	.section	.text._ZN9rocsparseL37gtsv_nopivot_crpcr_pow2_shared_kernelILj64ELj64EfEEviiiPKT1_S3_S3_PS1_,"axG",@progbits,_ZN9rocsparseL37gtsv_nopivot_crpcr_pow2_shared_kernelILj64ELj64EfEEviiiPKT1_S3_S3_PS1_,comdat
.Lfunc_end6:
	.size	_ZN9rocsparseL37gtsv_nopivot_crpcr_pow2_shared_kernelILj64ELj64EfEEviiiPKT1_S3_S3_PS1_, .Lfunc_end6-_ZN9rocsparseL37gtsv_nopivot_crpcr_pow2_shared_kernelILj64ELj64EfEEviiiPKT1_S3_S3_PS1_
                                        ; -- End function
	.set _ZN9rocsparseL37gtsv_nopivot_crpcr_pow2_shared_kernelILj64ELj64EfEEviiiPKT1_S3_S3_PS1_.num_vgpr, 34
	.set _ZN9rocsparseL37gtsv_nopivot_crpcr_pow2_shared_kernelILj64ELj64EfEEviiiPKT1_S3_S3_PS1_.num_agpr, 0
	.set _ZN9rocsparseL37gtsv_nopivot_crpcr_pow2_shared_kernelILj64ELj64EfEEviiiPKT1_S3_S3_PS1_.numbered_sgpr, 16
	.set _ZN9rocsparseL37gtsv_nopivot_crpcr_pow2_shared_kernelILj64ELj64EfEEviiiPKT1_S3_S3_PS1_.num_named_barrier, 0
	.set _ZN9rocsparseL37gtsv_nopivot_crpcr_pow2_shared_kernelILj64ELj64EfEEviiiPKT1_S3_S3_PS1_.private_seg_size, 0
	.set _ZN9rocsparseL37gtsv_nopivot_crpcr_pow2_shared_kernelILj64ELj64EfEEviiiPKT1_S3_S3_PS1_.uses_vcc, 1
	.set _ZN9rocsparseL37gtsv_nopivot_crpcr_pow2_shared_kernelILj64ELj64EfEEviiiPKT1_S3_S3_PS1_.uses_flat_scratch, 0
	.set _ZN9rocsparseL37gtsv_nopivot_crpcr_pow2_shared_kernelILj64ELj64EfEEviiiPKT1_S3_S3_PS1_.has_dyn_sized_stack, 0
	.set _ZN9rocsparseL37gtsv_nopivot_crpcr_pow2_shared_kernelILj64ELj64EfEEviiiPKT1_S3_S3_PS1_.has_recursion, 0
	.set _ZN9rocsparseL37gtsv_nopivot_crpcr_pow2_shared_kernelILj64ELj64EfEEviiiPKT1_S3_S3_PS1_.has_indirect_call, 0
	.section	.AMDGPU.csdata,"",@progbits
; Kernel info:
; codeLenInByte = 2776
; TotalNumSgprs: 20
; NumVgprs: 34
; ScratchSize: 0
; MemoryBound: 0
; FloatMode: 240
; IeeeMode: 1
; LDSByteSize: 3840 bytes/workgroup (compile time only)
; SGPRBlocks: 12
; VGPRBlocks: 10
; NumSGPRsForWavesPerEU: 102
; NumVGPRsForWavesPerEU: 41
; Occupancy: 5
; WaveLimiterHint : 1
; COMPUTE_PGM_RSRC2:SCRATCH_EN: 0
; COMPUTE_PGM_RSRC2:USER_SGPR: 6
; COMPUTE_PGM_RSRC2:TRAP_HANDLER: 0
; COMPUTE_PGM_RSRC2:TGID_X_EN: 1
; COMPUTE_PGM_RSRC2:TGID_Y_EN: 0
; COMPUTE_PGM_RSRC2:TGID_Z_EN: 0
; COMPUTE_PGM_RSRC2:TIDIG_COMP_CNT: 0
	.section	.text._ZN9rocsparseL37gtsv_nopivot_crpcr_pow2_shared_kernelILj128ELj64EfEEviiiPKT1_S3_S3_PS1_,"axG",@progbits,_ZN9rocsparseL37gtsv_nopivot_crpcr_pow2_shared_kernelILj128ELj64EfEEviiiPKT1_S3_S3_PS1_,comdat
	.globl	_ZN9rocsparseL37gtsv_nopivot_crpcr_pow2_shared_kernelILj128ELj64EfEEviiiPKT1_S3_S3_PS1_ ; -- Begin function _ZN9rocsparseL37gtsv_nopivot_crpcr_pow2_shared_kernelILj128ELj64EfEEviiiPKT1_S3_S3_PS1_
	.p2align	8
	.type	_ZN9rocsparseL37gtsv_nopivot_crpcr_pow2_shared_kernelILj128ELj64EfEEviiiPKT1_S3_S3_PS1_,@function
_ZN9rocsparseL37gtsv_nopivot_crpcr_pow2_shared_kernelILj128ELj64EfEEviiiPKT1_S3_S3_PS1_: ; @_ZN9rocsparseL37gtsv_nopivot_crpcr_pow2_shared_kernelILj128ELj64EfEEviiiPKT1_S3_S3_PS1_
; %bb.0:
	s_load_dwordx8 s[8:15], s[4:5], 0x10
	s_load_dword s0, s[4:5], 0x8
	v_mov_b32_e32 v4, 0
	v_lshlrev_b32_e32 v5, 2, v0
	s_waitcnt lgkmcnt(0)
	global_load_dword v6, v5, s[8:9]
	global_load_dword v7, v5, s[8:9] offset:512
	global_load_dword v8, v5, s[10:11]
	global_load_dword v9, v5, s[10:11] offset:512
	global_load_dword v10, v5, s[12:13] offset:512
	global_load_dword v12, v5, s[12:13]
	s_mul_i32 s0, s0, s6
	v_add_u32_e32 v3, s0, v0
	v_lshlrev_b64 v[1:2], 2, v[3:4]
	v_add_u32_e32 v3, 0x80, v3
	v_mov_b32_e32 v11, s15
	v_add_co_u32_e32 v1, vcc, s14, v1
	v_lshlrev_b64 v[3:4], 2, v[3:4]
	v_addc_co_u32_e32 v2, vcc, v11, v2, vcc
	v_add_co_u32_e32 v3, vcc, s14, v3
	v_addc_co_u32_e32 v4, vcc, v11, v4, vcc
	global_load_dword v13, v[1:2], off
	global_load_dword v14, v[3:4], off
	s_movk_i32 s0, 0x80
	v_add_u32_e32 v11, 1, v0
	v_cmp_gt_u32_e64 s[0:1], s0, v0
	s_waitcnt vmcnt(6)
	ds_write2st64_b32 v5, v6, v7 offset1:2
	s_waitcnt vmcnt(4)
	ds_write2st64_b32 v5, v8, v9 offset0:4 offset1:6
	s_waitcnt vmcnt(2)
	ds_write2st64_b32 v5, v12, v10 offset0:8 offset1:10
	;; [unrolled: 2-line block ×3, first 2 shown]
	s_waitcnt lgkmcnt(0)
	s_barrier
	s_and_saveexec_b64 s[4:5], s[0:1]
	s_cbranch_execz .LBB7_2
; %bb.1:
	v_lshlrev_b32_e32 v6, 1, v11
	v_lshlrev_b32_e32 v10, 3, v11
	v_min_u32_e32 v14, 0xff, v6
	v_add_u32_e32 v6, -8, v10
	ds_read_b64 v[12:13], v6
	ds_read2_b64 v[6:9], v10 offset0:127 offset1:255
	v_lshlrev_b32_e32 v18, 2, v14
	ds_read2st64_b32 v[14:15], v18 offset1:4
	ds_read_b64 v[16:17], v10 offset:4088
	s_waitcnt lgkmcnt(2)
	v_div_scale_f32 v19, s[2:3], v6, v6, v13
	s_waitcnt lgkmcnt(1)
	v_div_scale_f32 v20, s[2:3], v15, v15, v9
	v_div_scale_f32 v21, vcc, v13, v6, v13
	v_div_scale_f32 v22, s[2:3], v9, v15, v9
	v_rcp_f32_e32 v23, v19
	v_rcp_f32_e32 v24, v20
	v_fma_f32 v25, -v19, v23, 1.0
	v_fmac_f32_e32 v23, v25, v23
	v_fma_f32 v25, -v20, v24, 1.0
	v_mul_f32_e32 v26, v21, v23
	v_fmac_f32_e32 v24, v25, v24
	v_fma_f32 v25, -v19, v26, v21
	v_mul_f32_e32 v27, v22, v24
	v_fmac_f32_e32 v26, v25, v23
	v_fma_f32 v25, -v20, v27, v22
	v_fma_f32 v19, -v19, v26, v21
	v_fmac_f32_e32 v27, v25, v24
	v_div_fmas_f32 v21, v19, v23, v26
	v_fma_f32 v19, -v20, v27, v22
	s_mov_b64 vcc, s[2:3]
	v_div_fmas_f32 v20, v19, v24, v27
	ds_read2st64_b32 v[18:19], v18 offset0:8 offset1:16
	v_add_u32_e32 v22, -4, v10
	v_add_u32_e32 v23, 0xfc, v10
	v_div_fixup_f32 v6, v21, v6, v13
	v_fma_f32 v7, -v6, v8, v7
	s_waitcnt lgkmcnt(1)
	v_fma_f32 v8, -v6, v16, v17
	v_div_fixup_f32 v9, v20, v15, v9
	v_mul_f32_e64 v6, v6, -v12
	s_waitcnt lgkmcnt(0)
	v_fma_f32 v8, -v9, v19, v8
	v_fma_f32 v7, -v9, v14, v7
	ds_write_b32 v22, v6
	v_mul_f32_e64 v6, v9, -v18
	ds_write_b32 v10, v8 offset:4092
	ds_write2st64_b32 v23, v7, v6 offset0:3 offset1:7
.LBB7_2:
	s_or_b64 exec, exec, s[4:5]
	v_cmp_gt_u32_e64 s[2:3], 64, v0
	v_lshlrev_b32_e32 v6, 4, v11
	s_waitcnt lgkmcnt(0)
	s_barrier
	s_and_saveexec_b64 s[6:7], s[2:3]
	s_cbranch_execz .LBB7_4
; %bb.3:
	v_lshl_or_b32 v7, v11, 2, 1
	v_add_u32_e32 v18, -4, v6
	v_min_u32_e32 v12, 0xff, v7
	ds_read_b32 v19, v18
	ds_read2_b32 v[7:8], v6 offset0:253 offset1:255
	v_add_u32_e32 v9, 0x400, v6
	ds_read2_b32 v[9:10], v9 offset0:253 offset1:255
	v_lshlrev_b32_e32 v16, 2, v12
	v_add_u32_e32 v14, -12, v6
	ds_read2st64_b32 v[12:13], v16 offset1:4
	ds_read_b32 v20, v14
	s_waitcnt lgkmcnt(3)
	v_div_scale_f32 v14, s[4:5], v7, v7, v19
	v_div_scale_f32 v17, vcc, v19, v7, v19
	s_waitcnt lgkmcnt(1)
	v_div_scale_f32 v15, s[4:5], v13, v13, v10
	v_div_scale_f32 v21, s[4:5], v10, v13, v10
	v_rcp_f32_e32 v22, v14
	v_rcp_f32_e32 v23, v15
	v_fma_f32 v24, -v14, v22, 1.0
	v_fmac_f32_e32 v22, v24, v22
	v_mul_f32_e32 v24, v17, v22
	v_fma_f32 v25, -v15, v23, 1.0
	v_fma_f32 v26, -v14, v24, v17
	v_fmac_f32_e32 v23, v25, v23
	v_fmac_f32_e32 v24, v26, v22
	v_mul_f32_e32 v25, v21, v23
	v_fma_f32 v14, -v14, v24, v17
	v_fma_f32 v17, -v15, v25, v21
	v_fmac_f32_e32 v25, v17, v23
	v_div_fmas_f32 v22, v14, v22, v24
	v_fma_f32 v14, -v15, v25, v21
	s_mov_b64 vcc, s[4:5]
	v_div_fmas_f32 v21, v14, v23, v25
	v_add_u32_e32 v14, 0xc00, v6
	ds_read2_b32 v[14:15], v14 offset0:253 offset1:255
	ds_read2st64_b32 v[16:17], v16 offset0:8 offset1:16
	v_add_u32_e32 v23, 0xfc, v6
	v_div_fixup_f32 v7, v22, v7, v19
	v_fma_f32 v8, -v7, v9, v8
	s_waitcnt lgkmcnt(1)
	v_fma_f32 v9, -v7, v14, v15
	v_mul_f32_e64 v7, v7, -v20
	v_div_fixup_f32 v10, v21, v13, v10
	ds_write_b32 v18, v7
	v_fma_f32 v7, -v10, v12, v8
	s_waitcnt lgkmcnt(1)
	v_fma_f32 v8, -v10, v17, v9
	v_mul_f32_e64 v9, v10, -v16
	ds_write_b32 v6, v8 offset:4092
	ds_write2st64_b32 v23, v7, v9 offset0:3 offset1:7
.LBB7_4:
	s_or_b64 exec, exec, s[6:7]
	s_waitcnt lgkmcnt(0)
	s_barrier
	s_and_saveexec_b64 s[4:5], s[2:3]
	s_cbranch_execz .LBB7_6
; %bb.5:
	v_add_u32_e32 v9, -4, v6
	v_add_u32_e32 v7, 0xfc, v6
	ds_read2st64_b32 v[7:8], v7 offset0:3 offset1:7
	ds_read_b32 v9, v9
	ds_read_b32 v10, v6 offset:4092
	s_waitcnt lgkmcnt(1)
	ds_write2st64_b32 v5, v9, v7 offset0:20 offset1:21
	s_waitcnt lgkmcnt(1)
	ds_write2st64_b32 v5, v8, v10 offset0:22 offset1:24
.LBB7_6:
	s_or_b64 exec, exec, s[4:5]
	v_or_b32_e32 v8, 0x1400, v5
	v_or_b32_e32 v10, 0x1600, v5
	v_add_u32_e32 v9, 0x1500, v5
	v_or_b32_e32 v7, 0x1800, v5
	s_waitcnt lgkmcnt(0)
	s_barrier
                                        ; implicit-def: $vgpr14
                                        ; implicit-def: $vgpr15
                                        ; implicit-def: $vgpr13
                                        ; implicit-def: $vgpr12
	s_and_saveexec_b64 s[6:7], s[2:3]
	s_cbranch_execz .LBB7_8
; %bb.7:
	v_min_u32_e32 v13, 63, v11
	v_sub_u32_e64 v11, v0, 1 clamp
	v_lshlrev_b32_e32 v15, 2, v11
	ds_read2st64_b32 v[11:12], v15 offset0:20 offset1:21
	v_lshlrev_b32_e32 v17, 2, v13
	ds_read2st64_b32 v[13:14], v17 offset0:20 offset1:21
	ds_read_b32 v19, v8
	ds_read_b32 v20, v10
	;; [unrolled: 1-line block ×4, first 2 shown]
	s_waitcnt lgkmcnt(2)
	v_div_scale_f32 v18, s[4:5], v14, v14, v20
	v_div_scale_f32 v16, s[4:5], v12, v12, v19
	v_div_scale_f32 v23, vcc, v19, v12, v19
	v_div_scale_f32 v24, s[4:5], v20, v14, v20
	v_rcp_f32_e32 v26, v18
	v_rcp_f32_e32 v25, v16
	v_fma_f32 v28, -v18, v26, 1.0
	v_fmac_f32_e32 v26, v28, v26
	v_fma_f32 v27, -v16, v25, 1.0
	v_fmac_f32_e32 v25, v27, v25
	v_mul_f32_e32 v27, v23, v25
	v_mul_f32_e32 v28, v24, v26
	v_fma_f32 v29, -v16, v27, v23
	v_fma_f32 v30, -v18, v28, v24
	v_fmac_f32_e32 v27, v29, v25
	v_fmac_f32_e32 v28, v30, v26
	v_fma_f32 v16, -v16, v27, v23
	v_fma_f32 v18, -v18, v28, v24
	v_div_fmas_f32 v23, v16, v25, v27
	s_mov_b64 vcc, s[4:5]
	v_div_fmas_f32 v24, v18, v26, v28
	ds_read2st64_b32 v[15:16], v15 offset0:22 offset1:24
	ds_read2st64_b32 v[17:18], v17 offset0:22 offset1:24
	v_div_fixup_f32 v12, v23, v12, v19
	v_div_fixup_f32 v19, v24, v14, v20
	s_waitcnt lgkmcnt(1)
	v_fma_f32 v14, -v12, v15, v21
	v_fma_f32 v15, -v12, v16, v22
	v_mul_f32_e64 v12, v12, -v11
	v_fma_f32 v13, -v19, v13, v14
	s_waitcnt lgkmcnt(0)
	v_fma_f32 v14, -v19, v18, v15
	v_mul_f32_e64 v15, v19, -v17
.LBB7_8:
	s_or_b64 exec, exec, s[6:7]
	s_barrier
	s_and_saveexec_b64 s[4:5], s[2:3]
	s_cbranch_execz .LBB7_10
; %bb.9:
	ds_write_b32 v9, v13
	ds_write_b32 v7, v14
	ds_write_b32 v8, v12
	ds_write_b32 v10, v15
.LBB7_10:
	s_or_b64 exec, exec, s[4:5]
	s_waitcnt lgkmcnt(0)
	s_barrier
	s_and_saveexec_b64 s[6:7], s[2:3]
	s_cbranch_execz .LBB7_12
; %bb.11:
	v_sub_u32_e64 v11, v0, 2 clamp
	v_lshlrev_b32_e32 v15, 2, v11
	v_min_u32_e32 v13, 61, v0
	ds_read2st64_b32 v[11:12], v15 offset0:20 offset1:21
	v_lshlrev_b32_e32 v13, 2, v13
	v_add_u32_e32 v17, 8, v13
	ds_read2st64_b32 v[13:14], v17 offset0:20 offset1:21
	ds_read_b32 v19, v8
	ds_read_b32 v20, v10
	ds_read_b32 v21, v9
	ds_read_b32 v22, v7
	s_waitcnt lgkmcnt(3)
	v_div_scale_f32 v16, s[4:5], v12, v12, v19
	s_waitcnt lgkmcnt(2)
	v_div_scale_f32 v18, s[4:5], v14, v14, v20
	v_div_scale_f32 v23, vcc, v19, v12, v19
	v_div_scale_f32 v24, s[4:5], v20, v14, v20
	v_rcp_f32_e32 v25, v16
	v_rcp_f32_e32 v26, v18
	v_fma_f32 v27, -v16, v25, 1.0
	v_fmac_f32_e32 v25, v27, v25
	v_fma_f32 v27, -v18, v26, 1.0
	v_mul_f32_e32 v28, v23, v25
	v_fmac_f32_e32 v26, v27, v26
	v_fma_f32 v27, -v16, v28, v23
	v_mul_f32_e32 v29, v24, v26
	v_fmac_f32_e32 v28, v27, v25
	v_fma_f32 v27, -v18, v29, v24
	v_fma_f32 v16, -v16, v28, v23
	v_fmac_f32_e32 v29, v27, v26
	v_div_fmas_f32 v23, v16, v25, v28
	v_fma_f32 v16, -v18, v29, v24
	s_mov_b64 vcc, s[4:5]
	v_div_fmas_f32 v24, v16, v26, v29
	ds_read2st64_b32 v[15:16], v15 offset0:22 offset1:24
	ds_read2st64_b32 v[17:18], v17 offset0:22 offset1:24
	v_div_fixup_f32 v12, v23, v12, v19
	v_div_fixup_f32 v19, v24, v14, v20
	s_waitcnt lgkmcnt(1)
	v_fma_f32 v14, -v12, v15, v21
	v_fma_f32 v15, -v12, v16, v22
	v_mul_f32_e64 v12, v12, -v11
	v_fma_f32 v13, -v19, v13, v14
	s_waitcnt lgkmcnt(0)
	v_fma_f32 v14, -v19, v18, v15
	v_mul_f32_e64 v15, v19, -v17
.LBB7_12:
	s_or_b64 exec, exec, s[6:7]
	s_barrier
	s_and_saveexec_b64 s[4:5], s[2:3]
	s_cbranch_execz .LBB7_14
; %bb.13:
	ds_write_b32 v9, v13
	ds_write_b32 v7, v14
	ds_write_b32 v8, v12
	ds_write_b32 v10, v15
.LBB7_14:
	s_or_b64 exec, exec, s[4:5]
	s_waitcnt lgkmcnt(0)
	s_barrier
	s_and_saveexec_b64 s[6:7], s[2:3]
	s_cbranch_execz .LBB7_16
; %bb.15:
	v_sub_u32_e64 v11, v0, 4 clamp
	v_lshlrev_b32_e32 v15, 2, v11
	v_min_u32_e32 v13, 59, v0
	ds_read2st64_b32 v[11:12], v15 offset0:20 offset1:21
	v_lshlrev_b32_e32 v13, 2, v13
	v_add_u32_e32 v17, 16, v13
	ds_read2st64_b32 v[13:14], v17 offset0:20 offset1:21
	ds_read_b32 v19, v8
	ds_read_b32 v20, v10
	ds_read_b32 v21, v9
	ds_read_b32 v22, v7
	s_waitcnt lgkmcnt(3)
	v_div_scale_f32 v16, s[4:5], v12, v12, v19
	s_waitcnt lgkmcnt(2)
	v_div_scale_f32 v18, s[4:5], v14, v14, v20
	v_div_scale_f32 v23, vcc, v19, v12, v19
	v_div_scale_f32 v24, s[4:5], v20, v14, v20
	v_rcp_f32_e32 v25, v16
	v_rcp_f32_e32 v26, v18
	v_fma_f32 v27, -v16, v25, 1.0
	v_fmac_f32_e32 v25, v27, v25
	v_fma_f32 v27, -v18, v26, 1.0
	v_mul_f32_e32 v28, v23, v25
	v_fmac_f32_e32 v26, v27, v26
	v_fma_f32 v27, -v16, v28, v23
	v_mul_f32_e32 v29, v24, v26
	v_fmac_f32_e32 v28, v27, v25
	v_fma_f32 v27, -v18, v29, v24
	v_fma_f32 v16, -v16, v28, v23
	v_fmac_f32_e32 v29, v27, v26
	v_div_fmas_f32 v23, v16, v25, v28
	v_fma_f32 v16, -v18, v29, v24
	s_mov_b64 vcc, s[4:5]
	v_div_fmas_f32 v24, v16, v26, v29
	ds_read2st64_b32 v[15:16], v15 offset0:22 offset1:24
	ds_read2st64_b32 v[17:18], v17 offset0:22 offset1:24
	v_div_fixup_f32 v12, v23, v12, v19
	v_div_fixup_f32 v19, v24, v14, v20
	s_waitcnt lgkmcnt(1)
	v_fma_f32 v14, -v12, v15, v21
	v_fma_f32 v15, -v12, v16, v22
	v_mul_f32_e64 v12, v12, -v11
	v_fma_f32 v13, -v19, v13, v14
	s_waitcnt lgkmcnt(0)
	v_fma_f32 v14, -v19, v18, v15
	v_mul_f32_e64 v15, v19, -v17
.LBB7_16:
	;; [unrolled: 63-line block ×4, first 2 shown]
	s_or_b64 exec, exec, s[6:7]
	s_barrier
	s_and_saveexec_b64 s[4:5], s[2:3]
	s_cbranch_execz .LBB7_26
; %bb.25:
	ds_write_b32 v9, v13
	ds_write_b32 v7, v14
	;; [unrolled: 1-line block ×4, first 2 shown]
.LBB7_26:
	s_or_b64 exec, exec, s[4:5]
	v_cmp_gt_u32_e32 vcc, 32, v0
	s_waitcnt lgkmcnt(0)
	s_barrier
	s_and_saveexec_b64 s[4:5], vcc
	s_cbranch_execz .LBB7_28
; %bb.27:
	ds_read_b32 v12, v10
	ds_read_b32 v13, v8 offset:128
	ds_read2_b32 v[8:9], v9 offset1:32
	s_waitcnt lgkmcnt(1)
	v_mul_f32_e32 v10, v12, v13
	s_waitcnt lgkmcnt(0)
	v_fma_f32 v14, v9, v8, -v10
	v_div_scale_f32 v10, s[6:7], v14, v14, 1.0
	v_div_scale_f32 v11, vcc, 1.0, v14, 1.0
	v_rcp_f32_e32 v15, v10
	v_fma_f32 v16, -v10, v15, 1.0
	v_fmac_f32_e32 v15, v16, v15
	v_mul_f32_e32 v16, v11, v15
	v_fma_f32 v17, -v10, v16, v11
	v_fmac_f32_e32 v16, v17, v15
	v_fma_f32 v10, -v10, v16, v11
	v_div_fmas_f32 v15, v10, v15, v16
	ds_read2_b32 v[10:11], v7 offset1:32
	s_waitcnt lgkmcnt(0)
	v_mul_f32_e32 v7, v12, v11
	v_mul_f32_e32 v12, v13, v10
	v_fma_f32 v7, v9, v10, -v7
	v_fma_f32 v8, v8, v11, -v12
	v_div_fixup_f32 v9, v15, v14, 1.0
	v_mul_f32_e32 v7, v9, v7
	v_mul_f32_e32 v8, v9, v8
	v_add_u32_e32 v9, 0x1400, v5
	ds_write2_b32 v9, v7, v8 offset0:192 offset1:224
.LBB7_28:
	s_or_b64 exec, exec, s[4:5]
	s_waitcnt lgkmcnt(0)
	s_barrier
	s_and_saveexec_b64 s[4:5], s[2:3]
	s_cbranch_execz .LBB7_30
; %bb.29:
	ds_read_b32 v7, v5 offset:5888
	s_waitcnt lgkmcnt(0)
	ds_write_b32 v6, v7 offset:3068
.LBB7_30:
	s_or_b64 exec, exec, s[4:5]
	s_waitcnt lgkmcnt(0)
	s_barrier
	s_and_saveexec_b64 s[4:5], s[2:3]
	s_cbranch_execz .LBB7_34
; %bb.31:
	v_lshlrev_b32_e32 v6, 4, v0
	ds_read_b32 v7, v6 offset:4100
	v_cmp_ne_u32_e32 vcc, 0, v0
	v_lshlrev_b32_e32 v6, 2, v5
	s_and_saveexec_b64 s[2:3], vcc
	s_cbranch_execz .LBB7_33
; %bb.32:
	ds_read_b32 v8, v6 offset:4
	ds_read_b32 v9, v6 offset:3068
	s_waitcnt lgkmcnt(0)
	v_fma_f32 v7, -v8, v9, v7
.LBB7_33:
	s_or_b64 exec, exec, s[2:3]
	v_add_u32_e32 v8, 4, v6
	ds_read_b32 v10, v6 offset:3084
	ds_read2st64_b32 v[8:9], v8 offset0:4 offset1:8
	s_waitcnt lgkmcnt(0)
	v_fma_f32 v7, -v9, v10, v7
	v_div_scale_f32 v9, s[2:3], v8, v8, v7
	v_div_scale_f32 v10, vcc, v7, v8, v7
	v_rcp_f32_e32 v11, v9
	v_fma_f32 v12, -v9, v11, 1.0
	v_fmac_f32_e32 v11, v12, v11
	v_mul_f32_e32 v12, v10, v11
	v_fma_f32 v13, -v9, v12, v10
	v_fmac_f32_e32 v12, v13, v11
	v_fma_f32 v9, -v9, v12, v10
	v_div_fmas_f32 v9, v9, v11, v12
	v_div_fixup_f32 v7, v9, v8, v7
	ds_write_b32 v6, v7 offset:3076
.LBB7_34:
	s_or_b64 exec, exec, s[4:5]
	s_waitcnt lgkmcnt(0)
	s_barrier
	s_and_saveexec_b64 s[2:3], s[0:1]
	s_cbranch_execz .LBB7_38
; %bb.35:
	v_lshlrev_b32_e32 v6, 3, v0
	ds_read_b32 v6, v6 offset:4096
	v_lshlrev_b32_e32 v7, 1, v0
	v_cmp_ne_u32_e32 vcc, 0, v0
	v_lshlrev_b32_e32 v0, 2, v7
	s_and_saveexec_b64 s[0:1], vcc
	s_cbranch_execz .LBB7_37
; %bb.36:
	ds_read_b32 v7, v0
	ds_read_b32 v8, v0 offset:3068
	s_waitcnt lgkmcnt(0)
	v_fma_f32 v6, -v7, v8, v6
.LBB7_37:
	s_or_b64 exec, exec, s[0:1]
	ds_read2st64_b32 v[7:8], v0 offset0:4 offset1:8
	ds_read_b32 v9, v0 offset:3076
	s_waitcnt lgkmcnt(0)
	v_fma_f32 v6, -v8, v9, v6
	v_div_scale_f32 v8, s[0:1], v7, v7, v6
	v_div_scale_f32 v9, vcc, v6, v7, v6
	v_rcp_f32_e32 v10, v8
	v_fma_f32 v11, -v8, v10, 1.0
	v_fmac_f32_e32 v10, v11, v10
	v_mul_f32_e32 v11, v9, v10
	v_fma_f32 v12, -v8, v11, v9
	v_fmac_f32_e32 v11, v12, v10
	v_fma_f32 v8, -v8, v11, v9
	v_div_fmas_f32 v8, v8, v10, v11
	v_div_fixup_f32 v6, v8, v7, v6
	ds_write_b32 v0, v6 offset:3072
.LBB7_38:
	s_or_b64 exec, exec, s[2:3]
	s_waitcnt lgkmcnt(0)
	s_barrier
	ds_read2st64_b32 v[5:6], v5 offset0:12 offset1:14
	s_waitcnt lgkmcnt(0)
	global_store_dword v[1:2], v5, off
	global_store_dword v[3:4], v6, off
	s_endpgm
	.section	.rodata,"a",@progbits
	.p2align	6, 0x0
	.amdhsa_kernel _ZN9rocsparseL37gtsv_nopivot_crpcr_pow2_shared_kernelILj128ELj64EfEEviiiPKT1_S3_S3_PS1_
		.amdhsa_group_segment_fixed_size 6400
		.amdhsa_private_segment_fixed_size 0
		.amdhsa_kernarg_size 48
		.amdhsa_user_sgpr_count 6
		.amdhsa_user_sgpr_private_segment_buffer 1
		.amdhsa_user_sgpr_dispatch_ptr 0
		.amdhsa_user_sgpr_queue_ptr 0
		.amdhsa_user_sgpr_kernarg_segment_ptr 1
		.amdhsa_user_sgpr_dispatch_id 0
		.amdhsa_user_sgpr_flat_scratch_init 0
		.amdhsa_user_sgpr_private_segment_size 0
		.amdhsa_uses_dynamic_stack 0
		.amdhsa_system_sgpr_private_segment_wavefront_offset 0
		.amdhsa_system_sgpr_workgroup_id_x 1
		.amdhsa_system_sgpr_workgroup_id_y 0
		.amdhsa_system_sgpr_workgroup_id_z 0
		.amdhsa_system_sgpr_workgroup_info 0
		.amdhsa_system_vgpr_workitem_id 0
		.amdhsa_next_free_vgpr 41
		.amdhsa_next_free_sgpr 98
		.amdhsa_reserve_vcc 1
		.amdhsa_reserve_flat_scratch 0
		.amdhsa_float_round_mode_32 0
		.amdhsa_float_round_mode_16_64 0
		.amdhsa_float_denorm_mode_32 3
		.amdhsa_float_denorm_mode_16_64 3
		.amdhsa_dx10_clamp 1
		.amdhsa_ieee_mode 1
		.amdhsa_fp16_overflow 0
		.amdhsa_exception_fp_ieee_invalid_op 0
		.amdhsa_exception_fp_denorm_src 0
		.amdhsa_exception_fp_ieee_div_zero 0
		.amdhsa_exception_fp_ieee_overflow 0
		.amdhsa_exception_fp_ieee_underflow 0
		.amdhsa_exception_fp_ieee_inexact 0
		.amdhsa_exception_int_div_zero 0
	.end_amdhsa_kernel
	.section	.text._ZN9rocsparseL37gtsv_nopivot_crpcr_pow2_shared_kernelILj128ELj64EfEEviiiPKT1_S3_S3_PS1_,"axG",@progbits,_ZN9rocsparseL37gtsv_nopivot_crpcr_pow2_shared_kernelILj128ELj64EfEEviiiPKT1_S3_S3_PS1_,comdat
.Lfunc_end7:
	.size	_ZN9rocsparseL37gtsv_nopivot_crpcr_pow2_shared_kernelILj128ELj64EfEEviiiPKT1_S3_S3_PS1_, .Lfunc_end7-_ZN9rocsparseL37gtsv_nopivot_crpcr_pow2_shared_kernelILj128ELj64EfEEviiiPKT1_S3_S3_PS1_
                                        ; -- End function
	.set _ZN9rocsparseL37gtsv_nopivot_crpcr_pow2_shared_kernelILj128ELj64EfEEviiiPKT1_S3_S3_PS1_.num_vgpr, 31
	.set _ZN9rocsparseL37gtsv_nopivot_crpcr_pow2_shared_kernelILj128ELj64EfEEviiiPKT1_S3_S3_PS1_.num_agpr, 0
	.set _ZN9rocsparseL37gtsv_nopivot_crpcr_pow2_shared_kernelILj128ELj64EfEEviiiPKT1_S3_S3_PS1_.numbered_sgpr, 16
	.set _ZN9rocsparseL37gtsv_nopivot_crpcr_pow2_shared_kernelILj128ELj64EfEEviiiPKT1_S3_S3_PS1_.num_named_barrier, 0
	.set _ZN9rocsparseL37gtsv_nopivot_crpcr_pow2_shared_kernelILj128ELj64EfEEviiiPKT1_S3_S3_PS1_.private_seg_size, 0
	.set _ZN9rocsparseL37gtsv_nopivot_crpcr_pow2_shared_kernelILj128ELj64EfEEviiiPKT1_S3_S3_PS1_.uses_vcc, 1
	.set _ZN9rocsparseL37gtsv_nopivot_crpcr_pow2_shared_kernelILj128ELj64EfEEviiiPKT1_S3_S3_PS1_.uses_flat_scratch, 0
	.set _ZN9rocsparseL37gtsv_nopivot_crpcr_pow2_shared_kernelILj128ELj64EfEEviiiPKT1_S3_S3_PS1_.has_dyn_sized_stack, 0
	.set _ZN9rocsparseL37gtsv_nopivot_crpcr_pow2_shared_kernelILj128ELj64EfEEviiiPKT1_S3_S3_PS1_.has_recursion, 0
	.set _ZN9rocsparseL37gtsv_nopivot_crpcr_pow2_shared_kernelILj128ELj64EfEEviiiPKT1_S3_S3_PS1_.has_indirect_call, 0
	.section	.AMDGPU.csdata,"",@progbits
; Kernel info:
; codeLenInByte = 3524
; TotalNumSgprs: 20
; NumVgprs: 31
; ScratchSize: 0
; MemoryBound: 0
; FloatMode: 240
; IeeeMode: 1
; LDSByteSize: 6400 bytes/workgroup (compile time only)
; SGPRBlocks: 12
; VGPRBlocks: 10
; NumSGPRsForWavesPerEU: 102
; NumVGPRsForWavesPerEU: 41
; Occupancy: 5
; WaveLimiterHint : 1
; COMPUTE_PGM_RSRC2:SCRATCH_EN: 0
; COMPUTE_PGM_RSRC2:USER_SGPR: 6
; COMPUTE_PGM_RSRC2:TRAP_HANDLER: 0
; COMPUTE_PGM_RSRC2:TGID_X_EN: 1
; COMPUTE_PGM_RSRC2:TGID_Y_EN: 0
; COMPUTE_PGM_RSRC2:TGID_Z_EN: 0
; COMPUTE_PGM_RSRC2:TIDIG_COMP_CNT: 0
	.section	.text._ZN9rocsparseL37gtsv_nopivot_crpcr_pow2_shared_kernelILj256ELj64EfEEviiiPKT1_S3_S3_PS1_,"axG",@progbits,_ZN9rocsparseL37gtsv_nopivot_crpcr_pow2_shared_kernelILj256ELj64EfEEviiiPKT1_S3_S3_PS1_,comdat
	.globl	_ZN9rocsparseL37gtsv_nopivot_crpcr_pow2_shared_kernelILj256ELj64EfEEviiiPKT1_S3_S3_PS1_ ; -- Begin function _ZN9rocsparseL37gtsv_nopivot_crpcr_pow2_shared_kernelILj256ELj64EfEEviiiPKT1_S3_S3_PS1_
	.p2align	8
	.type	_ZN9rocsparseL37gtsv_nopivot_crpcr_pow2_shared_kernelILj256ELj64EfEEviiiPKT1_S3_S3_PS1_,@function
_ZN9rocsparseL37gtsv_nopivot_crpcr_pow2_shared_kernelILj256ELj64EfEEviiiPKT1_S3_S3_PS1_: ; @_ZN9rocsparseL37gtsv_nopivot_crpcr_pow2_shared_kernelILj256ELj64EfEEviiiPKT1_S3_S3_PS1_
; %bb.0:
	s_load_dwordx8 s[8:15], s[4:5], 0x10
	s_load_dword s0, s[4:5], 0x8
	v_mov_b32_e32 v4, 0
	v_lshlrev_b32_e32 v5, 2, v0
	s_waitcnt lgkmcnt(0)
	global_load_dword v6, v5, s[8:9]
	global_load_dword v7, v5, s[8:9] offset:1024
	global_load_dword v8, v5, s[10:11]
	global_load_dword v9, v5, s[10:11] offset:1024
	global_load_dword v10, v5, s[12:13] offset:1024
	global_load_dword v12, v5, s[12:13]
	s_mul_i32 s0, s0, s6
	v_add_u32_e32 v3, s0, v0
	v_lshlrev_b64 v[1:2], 2, v[3:4]
	v_add_u32_e32 v3, 0x100, v3
	v_mov_b32_e32 v11, s15
	v_add_co_u32_e32 v1, vcc, s14, v1
	v_lshlrev_b64 v[3:4], 2, v[3:4]
	v_addc_co_u32_e32 v2, vcc, v11, v2, vcc
	v_add_co_u32_e32 v3, vcc, s14, v3
	v_addc_co_u32_e32 v4, vcc, v11, v4, vcc
	global_load_dword v13, v[1:2], off
	global_load_dword v14, v[3:4], off
	s_movk_i32 s0, 0x100
	v_add_u32_e32 v11, 1, v0
	v_cmp_gt_u32_e64 s[0:1], s0, v0
	s_waitcnt vmcnt(6)
	ds_write2st64_b32 v5, v6, v7 offset1:4
	s_waitcnt vmcnt(4)
	ds_write2st64_b32 v5, v8, v9 offset0:8 offset1:12
	s_waitcnt vmcnt(2)
	ds_write2st64_b32 v5, v12, v10 offset0:16 offset1:20
	;; [unrolled: 2-line block ×3, first 2 shown]
	s_waitcnt lgkmcnt(0)
	s_barrier
	s_and_saveexec_b64 s[4:5], s[0:1]
	s_cbranch_execz .LBB8_2
; %bb.1:
	v_lshlrev_b32_e32 v6, 1, v11
	v_lshlrev_b32_e32 v10, 3, v11
	v_min_u32_e32 v14, 0x1ff, v6
	v_add_u32_e32 v6, -8, v10
	ds_read_b64 v[12:13], v6
	v_add_u32_e32 v6, 0x1f8, v10
	ds_read2st64_b64 v[6:9], v6 offset0:3 offset1:7
	v_lshlrev_b32_e32 v18, 2, v14
	ds_read2st64_b32 v[14:15], v18 offset1:8
	ds_read_b64 v[16:17], v10 offset:8184
	s_waitcnt lgkmcnt(2)
	v_div_scale_f32 v19, s[2:3], v6, v6, v13
	s_waitcnt lgkmcnt(1)
	v_div_scale_f32 v20, s[2:3], v15, v15, v9
	v_div_scale_f32 v21, vcc, v13, v6, v13
	v_div_scale_f32 v22, s[2:3], v9, v15, v9
	v_rcp_f32_e32 v23, v19
	v_rcp_f32_e32 v24, v20
	v_fma_f32 v25, -v19, v23, 1.0
	v_fmac_f32_e32 v23, v25, v23
	v_fma_f32 v25, -v20, v24, 1.0
	v_mul_f32_e32 v26, v21, v23
	v_fmac_f32_e32 v24, v25, v24
	v_fma_f32 v25, -v19, v26, v21
	v_mul_f32_e32 v27, v22, v24
	v_fmac_f32_e32 v26, v25, v23
	v_fma_f32 v25, -v20, v27, v22
	v_fma_f32 v19, -v19, v26, v21
	v_fmac_f32_e32 v27, v25, v24
	v_div_fmas_f32 v21, v19, v23, v26
	v_fma_f32 v19, -v20, v27, v22
	s_mov_b64 vcc, s[2:3]
	v_div_fmas_f32 v20, v19, v24, v27
	ds_read2st64_b32 v[18:19], v18 offset0:16 offset1:32
	v_add_u32_e32 v22, -4, v10
	v_add_u32_e32 v23, 0xfc, v10
	v_div_fixup_f32 v6, v21, v6, v13
	v_fma_f32 v7, -v6, v8, v7
	s_waitcnt lgkmcnt(1)
	v_fma_f32 v8, -v6, v16, v17
	v_div_fixup_f32 v9, v20, v15, v9
	v_mul_f32_e64 v6, v6, -v12
	s_waitcnt lgkmcnt(0)
	v_fma_f32 v8, -v9, v19, v8
	v_fma_f32 v7, -v9, v14, v7
	ds_write_b32 v22, v6
	v_mul_f32_e64 v6, v9, -v18
	ds_write_b32 v10, v8 offset:8188
	ds_write2st64_b32 v23, v7, v6 offset0:7 offset1:15
.LBB8_2:
	s_or_b64 exec, exec, s[4:5]
	s_movk_i32 s2, 0x80
	v_cmp_gt_u32_e64 s[2:3], s2, v0
	s_waitcnt lgkmcnt(0)
	s_barrier
	s_and_saveexec_b64 s[6:7], s[2:3]
	s_cbranch_execz .LBB8_4
; %bb.3:
	v_lshlrev_b32_e32 v10, 4, v11
	v_lshl_or_b32 v6, v11, 2, 1
	v_min_u32_e32 v12, 0x1ff, v6
	v_add_u32_e32 v18, -4, v10
	v_add_u32_e32 v6, 0x400, v10
	ds_read_b32 v19, v18
	ds_read2_b32 v[6:7], v6 offset0:253 offset1:255
	v_add_u32_e32 v8, 0xc00, v10
	ds_read2_b32 v[8:9], v8 offset0:253 offset1:255
	v_lshlrev_b32_e32 v16, 2, v12
	v_add_u32_e32 v14, -12, v10
	ds_read2st64_b32 v[12:13], v16 offset1:8
	ds_read_b32 v20, v14
	s_waitcnt lgkmcnt(3)
	v_div_scale_f32 v14, s[4:5], v6, v6, v19
	v_div_scale_f32 v17, vcc, v19, v6, v19
	s_waitcnt lgkmcnt(1)
	v_div_scale_f32 v15, s[4:5], v13, v13, v9
	v_div_scale_f32 v21, s[4:5], v9, v13, v9
	v_rcp_f32_e32 v22, v14
	v_rcp_f32_e32 v23, v15
	v_fma_f32 v24, -v14, v22, 1.0
	v_fmac_f32_e32 v22, v24, v22
	v_mul_f32_e32 v25, v17, v22
	v_fma_f32 v24, -v15, v23, 1.0
	v_fmac_f32_e32 v23, v24, v23
	v_fma_f32 v24, -v14, v25, v17
	v_fmac_f32_e32 v25, v24, v22
	v_mul_f32_e32 v26, v21, v23
	v_fma_f32 v14, -v14, v25, v17
	v_div_fmas_f32 v22, v14, v22, v25
	v_fma_f32 v14, -v15, v26, v21
	v_fmac_f32_e32 v26, v14, v23
	v_fma_f32 v14, -v15, v26, v21
	s_mov_b64 vcc, s[4:5]
	v_div_fmas_f32 v21, v14, v23, v26
	v_add_u32_e32 v14, 0x1c00, v10
	ds_read2_b32 v[14:15], v14 offset0:253 offset1:255
	ds_read2st64_b32 v[16:17], v16 offset0:16 offset1:32
	v_add_u32_e32 v23, 0xfc, v10
	v_div_fixup_f32 v6, v22, v6, v19
	v_fma_f32 v7, -v6, v8, v7
	s_waitcnt lgkmcnt(1)
	v_fma_f32 v8, -v6, v14, v15
	v_mul_f32_e64 v6, v6, -v20
	ds_write_b32 v18, v6
	v_div_fixup_f32 v9, v21, v13, v9
	s_waitcnt lgkmcnt(1)
	v_fma_f32 v8, -v9, v17, v8
	v_fma_f32 v7, -v9, v12, v7
	v_mul_f32_e64 v6, v9, -v16
	ds_write_b32 v10, v8 offset:8188
	ds_write2st64_b32 v23, v7, v6 offset0:7 offset1:15
.LBB8_4:
	s_or_b64 exec, exec, s[6:7]
	v_cmp_gt_u32_e64 s[4:5], 64, v0
	v_lshlrev_b32_e32 v6, 5, v11
	s_waitcnt lgkmcnt(0)
	s_barrier
	s_and_saveexec_b64 s[8:9], s[4:5]
	s_cbranch_execz .LBB8_6
; %bb.5:
	v_lshl_or_b32 v7, v11, 3, 3
	v_min_u32_e32 v12, 0x1ff, v7
	v_add_u32_e32 v18, -4, v6
	v_add_u32_e32 v7, 0x400, v6
	ds_read_b32 v19, v18
	ds_read2_b32 v[7:8], v7 offset0:251 offset1:255
	v_add_u32_e32 v9, 0xc00, v6
	ds_read2_b32 v[9:10], v9 offset0:251 offset1:255
	v_lshlrev_b32_e32 v16, 2, v12
	v_subrev_u32_e32 v14, 20, v6
	ds_read2st64_b32 v[12:13], v16 offset1:8
	ds_read_b32 v20, v14
	s_waitcnt lgkmcnt(3)
	v_div_scale_f32 v14, s[6:7], v7, v7, v19
	v_div_scale_f32 v17, vcc, v19, v7, v19
	s_waitcnt lgkmcnt(1)
	v_div_scale_f32 v15, s[6:7], v13, v13, v10
	v_div_scale_f32 v21, s[6:7], v10, v13, v10
	v_rcp_f32_e32 v22, v14
	v_rcp_f32_e32 v23, v15
	v_fma_f32 v24, -v14, v22, 1.0
	v_fmac_f32_e32 v22, v24, v22
	v_mul_f32_e32 v24, v17, v22
	v_fma_f32 v25, -v15, v23, 1.0
	v_fma_f32 v26, -v14, v24, v17
	v_fmac_f32_e32 v23, v25, v23
	v_fmac_f32_e32 v24, v26, v22
	v_mul_f32_e32 v25, v21, v23
	v_fma_f32 v14, -v14, v24, v17
	v_div_fmas_f32 v22, v14, v22, v24
	v_fma_f32 v14, -v15, v25, v21
	v_fmac_f32_e32 v25, v14, v23
	v_fma_f32 v14, -v15, v25, v21
	s_mov_b64 vcc, s[6:7]
	v_div_fmas_f32 v21, v14, v23, v25
	v_add_u32_e32 v14, 0x1c00, v6
	ds_read2_b32 v[14:15], v14 offset0:251 offset1:255
	ds_read2st64_b32 v[16:17], v16 offset0:16 offset1:32
	v_add_u32_e32 v23, 0xfc, v6
	v_div_fixup_f32 v7, v22, v7, v19
	v_fma_f32 v8, -v7, v9, v8
	s_waitcnt lgkmcnt(1)
	v_fma_f32 v9, -v7, v14, v15
	v_mul_f32_e64 v7, v7, -v20
	ds_write_b32 v18, v7
	v_div_fixup_f32 v10, v21, v13, v10
	v_fma_f32 v7, -v10, v12, v8
	s_waitcnt lgkmcnt(1)
	v_fma_f32 v8, -v10, v17, v9
	v_mul_f32_e64 v9, v10, -v16
	ds_write_b32 v6, v8 offset:8188
	ds_write2st64_b32 v23, v7, v9 offset0:7 offset1:15
.LBB8_6:
	s_or_b64 exec, exec, s[8:9]
	s_waitcnt lgkmcnt(0)
	s_barrier
	s_and_saveexec_b64 s[6:7], s[4:5]
	s_cbranch_execz .LBB8_8
; %bb.7:
	v_add_u32_e32 v9, -4, v6
	v_add_u32_e32 v7, 0xfc, v6
	ds_read2st64_b32 v[7:8], v7 offset0:7 offset1:15
	ds_read_b32 v9, v9
	ds_read_b32 v10, v6 offset:8188
	s_waitcnt lgkmcnt(1)
	ds_write2st64_b32 v5, v9, v7 offset0:40 offset1:41
	s_waitcnt lgkmcnt(1)
	ds_write2st64_b32 v5, v8, v10 offset0:42 offset1:44
.LBB8_8:
	s_or_b64 exec, exec, s[6:7]
	v_or_b32_e32 v8, 0x2800, v5
	v_add_u32_e32 v10, 0x2a00, v5
	v_add_u32_e32 v9, 0x2900, v5
	v_or_b32_e32 v7, 0x2c00, v5
	s_waitcnt lgkmcnt(0)
	s_barrier
                                        ; implicit-def: $vgpr14
                                        ; implicit-def: $vgpr15
                                        ; implicit-def: $vgpr13
                                        ; implicit-def: $vgpr12
	s_and_saveexec_b64 s[8:9], s[4:5]
	s_cbranch_execz .LBB8_10
; %bb.9:
	v_min_u32_e32 v13, 63, v11
	v_sub_u32_e64 v11, v0, 1 clamp
	v_lshlrev_b32_e32 v15, 2, v11
	ds_read2st64_b32 v[11:12], v15 offset0:40 offset1:41
	v_lshlrev_b32_e32 v17, 2, v13
	ds_read2st64_b32 v[13:14], v17 offset0:40 offset1:41
	ds_read_b32 v19, v8
	ds_read_b32 v20, v10
	;; [unrolled: 1-line block ×4, first 2 shown]
	s_waitcnt lgkmcnt(2)
	v_div_scale_f32 v18, s[6:7], v14, v14, v20
	v_div_scale_f32 v16, s[6:7], v12, v12, v19
	v_div_scale_f32 v23, vcc, v19, v12, v19
	v_div_scale_f32 v24, s[6:7], v20, v14, v20
	v_rcp_f32_e32 v26, v18
	v_rcp_f32_e32 v25, v16
	v_fma_f32 v28, -v18, v26, 1.0
	v_fmac_f32_e32 v26, v28, v26
	v_fma_f32 v27, -v16, v25, 1.0
	v_fmac_f32_e32 v25, v27, v25
	v_mul_f32_e32 v27, v23, v25
	v_mul_f32_e32 v28, v24, v26
	v_fma_f32 v29, -v16, v27, v23
	v_fma_f32 v30, -v18, v28, v24
	v_fmac_f32_e32 v27, v29, v25
	v_fmac_f32_e32 v28, v30, v26
	v_fma_f32 v16, -v16, v27, v23
	v_fma_f32 v18, -v18, v28, v24
	v_div_fmas_f32 v23, v16, v25, v27
	s_mov_b64 vcc, s[6:7]
	v_div_fmas_f32 v24, v18, v26, v28
	ds_read2st64_b32 v[15:16], v15 offset0:42 offset1:44
	ds_read2st64_b32 v[17:18], v17 offset0:42 offset1:44
	v_div_fixup_f32 v12, v23, v12, v19
	v_div_fixup_f32 v19, v24, v14, v20
	s_waitcnt lgkmcnt(1)
	v_fma_f32 v14, -v12, v15, v21
	v_fma_f32 v15, -v12, v16, v22
	v_mul_f32_e64 v12, v12, -v11
	v_fma_f32 v13, -v19, v13, v14
	s_waitcnt lgkmcnt(0)
	v_fma_f32 v14, -v19, v18, v15
	v_mul_f32_e64 v15, v19, -v17
.LBB8_10:
	s_or_b64 exec, exec, s[8:9]
	s_barrier
	s_and_saveexec_b64 s[6:7], s[4:5]
	s_cbranch_execz .LBB8_12
; %bb.11:
	ds_write_b32 v9, v13
	ds_write_b32 v7, v14
	ds_write_b32 v8, v12
	ds_write_b32 v10, v15
.LBB8_12:
	s_or_b64 exec, exec, s[6:7]
	s_waitcnt lgkmcnt(0)
	s_barrier
	s_and_saveexec_b64 s[8:9], s[4:5]
	s_cbranch_execz .LBB8_14
; %bb.13:
	v_sub_u32_e64 v11, v0, 2 clamp
	v_lshlrev_b32_e32 v15, 2, v11
	v_min_u32_e32 v13, 61, v0
	ds_read2st64_b32 v[11:12], v15 offset0:40 offset1:41
	v_lshlrev_b32_e32 v13, 2, v13
	v_add_u32_e32 v17, 8, v13
	ds_read2st64_b32 v[13:14], v17 offset0:40 offset1:41
	ds_read_b32 v19, v8
	ds_read_b32 v20, v10
	ds_read_b32 v21, v9
	ds_read_b32 v22, v7
	s_waitcnt lgkmcnt(3)
	v_div_scale_f32 v16, s[6:7], v12, v12, v19
	s_waitcnt lgkmcnt(2)
	v_div_scale_f32 v18, s[6:7], v14, v14, v20
	v_div_scale_f32 v23, vcc, v19, v12, v19
	v_div_scale_f32 v24, s[6:7], v20, v14, v20
	v_rcp_f32_e32 v25, v16
	v_rcp_f32_e32 v26, v18
	v_fma_f32 v27, -v16, v25, 1.0
	v_fmac_f32_e32 v25, v27, v25
	v_fma_f32 v27, -v18, v26, 1.0
	v_mul_f32_e32 v28, v23, v25
	v_fmac_f32_e32 v26, v27, v26
	v_fma_f32 v27, -v16, v28, v23
	v_mul_f32_e32 v29, v24, v26
	v_fmac_f32_e32 v28, v27, v25
	v_fma_f32 v27, -v18, v29, v24
	v_fma_f32 v16, -v16, v28, v23
	v_fmac_f32_e32 v29, v27, v26
	v_div_fmas_f32 v23, v16, v25, v28
	v_fma_f32 v16, -v18, v29, v24
	s_mov_b64 vcc, s[6:7]
	v_div_fmas_f32 v24, v16, v26, v29
	ds_read2st64_b32 v[15:16], v15 offset0:42 offset1:44
	ds_read2st64_b32 v[17:18], v17 offset0:42 offset1:44
	v_div_fixup_f32 v12, v23, v12, v19
	v_div_fixup_f32 v19, v24, v14, v20
	s_waitcnt lgkmcnt(1)
	v_fma_f32 v14, -v12, v15, v21
	v_fma_f32 v15, -v12, v16, v22
	v_mul_f32_e64 v12, v12, -v11
	v_fma_f32 v13, -v19, v13, v14
	s_waitcnt lgkmcnt(0)
	v_fma_f32 v14, -v19, v18, v15
	v_mul_f32_e64 v15, v19, -v17
.LBB8_14:
	s_or_b64 exec, exec, s[8:9]
	s_barrier
	s_and_saveexec_b64 s[6:7], s[4:5]
	s_cbranch_execz .LBB8_16
; %bb.15:
	ds_write_b32 v9, v13
	ds_write_b32 v7, v14
	ds_write_b32 v8, v12
	ds_write_b32 v10, v15
.LBB8_16:
	s_or_b64 exec, exec, s[6:7]
	s_waitcnt lgkmcnt(0)
	s_barrier
	s_and_saveexec_b64 s[8:9], s[4:5]
	s_cbranch_execz .LBB8_18
; %bb.17:
	v_sub_u32_e64 v11, v0, 4 clamp
	v_lshlrev_b32_e32 v15, 2, v11
	v_min_u32_e32 v13, 59, v0
	ds_read2st64_b32 v[11:12], v15 offset0:40 offset1:41
	v_lshlrev_b32_e32 v13, 2, v13
	v_add_u32_e32 v17, 16, v13
	ds_read2st64_b32 v[13:14], v17 offset0:40 offset1:41
	ds_read_b32 v19, v8
	ds_read_b32 v20, v10
	ds_read_b32 v21, v9
	ds_read_b32 v22, v7
	s_waitcnt lgkmcnt(3)
	v_div_scale_f32 v16, s[6:7], v12, v12, v19
	s_waitcnt lgkmcnt(2)
	v_div_scale_f32 v18, s[6:7], v14, v14, v20
	v_div_scale_f32 v23, vcc, v19, v12, v19
	v_div_scale_f32 v24, s[6:7], v20, v14, v20
	v_rcp_f32_e32 v25, v16
	v_rcp_f32_e32 v26, v18
	v_fma_f32 v27, -v16, v25, 1.0
	v_fmac_f32_e32 v25, v27, v25
	v_fma_f32 v27, -v18, v26, 1.0
	v_mul_f32_e32 v28, v23, v25
	v_fmac_f32_e32 v26, v27, v26
	v_fma_f32 v27, -v16, v28, v23
	v_mul_f32_e32 v29, v24, v26
	v_fmac_f32_e32 v28, v27, v25
	v_fma_f32 v27, -v18, v29, v24
	v_fma_f32 v16, -v16, v28, v23
	v_fmac_f32_e32 v29, v27, v26
	v_div_fmas_f32 v23, v16, v25, v28
	v_fma_f32 v16, -v18, v29, v24
	s_mov_b64 vcc, s[6:7]
	v_div_fmas_f32 v24, v16, v26, v29
	ds_read2st64_b32 v[15:16], v15 offset0:42 offset1:44
	ds_read2st64_b32 v[17:18], v17 offset0:42 offset1:44
	v_div_fixup_f32 v12, v23, v12, v19
	v_div_fixup_f32 v19, v24, v14, v20
	s_waitcnt lgkmcnt(1)
	v_fma_f32 v14, -v12, v15, v21
	v_fma_f32 v15, -v12, v16, v22
	v_mul_f32_e64 v12, v12, -v11
	v_fma_f32 v13, -v19, v13, v14
	s_waitcnt lgkmcnt(0)
	v_fma_f32 v14, -v19, v18, v15
	v_mul_f32_e64 v15, v19, -v17
.LBB8_18:
	;; [unrolled: 63-line block ×4, first 2 shown]
	s_or_b64 exec, exec, s[8:9]
	s_barrier
	s_and_saveexec_b64 s[6:7], s[4:5]
	s_cbranch_execz .LBB8_28
; %bb.27:
	ds_write_b32 v9, v13
	ds_write_b32 v7, v14
	;; [unrolled: 1-line block ×4, first 2 shown]
.LBB8_28:
	s_or_b64 exec, exec, s[6:7]
	v_cmp_gt_u32_e32 vcc, 32, v0
	s_waitcnt lgkmcnt(0)
	s_barrier
	s_and_saveexec_b64 s[6:7], vcc
	s_cbranch_execz .LBB8_30
; %bb.29:
	ds_read_b32 v12, v10
	ds_read_b32 v13, v8 offset:128
	ds_read2_b32 v[8:9], v9 offset1:32
	s_waitcnt lgkmcnt(1)
	v_mul_f32_e32 v10, v12, v13
	s_waitcnt lgkmcnt(0)
	v_fma_f32 v14, v9, v8, -v10
	v_div_scale_f32 v10, s[8:9], v14, v14, 1.0
	v_div_scale_f32 v11, vcc, 1.0, v14, 1.0
	v_rcp_f32_e32 v15, v10
	v_fma_f32 v16, -v10, v15, 1.0
	v_fmac_f32_e32 v15, v16, v15
	v_mul_f32_e32 v16, v11, v15
	v_fma_f32 v17, -v10, v16, v11
	v_fmac_f32_e32 v16, v17, v15
	v_fma_f32 v10, -v10, v16, v11
	v_div_fmas_f32 v15, v10, v15, v16
	ds_read2_b32 v[10:11], v7 offset1:32
	s_waitcnt lgkmcnt(0)
	v_mul_f32_e32 v7, v12, v11
	v_mul_f32_e32 v12, v13, v10
	v_fma_f32 v7, v9, v10, -v7
	v_fma_f32 v8, v8, v11, -v12
	v_div_fixup_f32 v9, v15, v14, 1.0
	v_mul_f32_e32 v7, v9, v7
	v_mul_f32_e32 v8, v9, v8
	v_add_u32_e32 v9, 0x2800, v5
	ds_write2_b32 v9, v7, v8 offset0:192 offset1:224
.LBB8_30:
	s_or_b64 exec, exec, s[6:7]
	s_waitcnt lgkmcnt(0)
	s_barrier
	s_and_saveexec_b64 s[6:7], s[4:5]
	s_cbranch_execz .LBB8_32
; %bb.31:
	ds_read_b32 v7, v5 offset:11008
	s_waitcnt lgkmcnt(0)
	ds_write_b32 v6, v7 offset:6140
.LBB8_32:
	s_or_b64 exec, exec, s[6:7]
	v_lshlrev_b32_e32 v6, 3, v0
	s_waitcnt lgkmcnt(0)
	s_barrier
	s_and_saveexec_b64 s[6:7], s[4:5]
	s_cbranch_execz .LBB8_36
; %bb.33:
	v_lshlrev_b32_e32 v7, 5, v0
	ds_read_b32 v8, v7 offset:8204
	v_cmp_ne_u32_e32 vcc, 0, v0
	v_lshlrev_b32_e32 v7, 2, v6
	s_and_saveexec_b64 s[4:5], vcc
	s_cbranch_execz .LBB8_35
; %bb.34:
	ds_read_b32 v9, v7 offset:12
	ds_read_b32 v10, v7 offset:6140
	s_waitcnt lgkmcnt(0)
	v_fma_f32 v8, -v9, v10, v8
.LBB8_35:
	s_or_b64 exec, exec, s[4:5]
	v_add_u32_e32 v9, 12, v7
	ds_read_b32 v11, v7 offset:6172
	ds_read2st64_b32 v[9:10], v9 offset0:8 offset1:16
	s_waitcnt lgkmcnt(0)
	v_fma_f32 v8, -v10, v11, v8
	v_div_scale_f32 v10, s[4:5], v9, v9, v8
	v_div_scale_f32 v11, vcc, v8, v9, v8
	v_rcp_f32_e32 v12, v10
	v_fma_f32 v13, -v10, v12, 1.0
	v_fmac_f32_e32 v12, v13, v12
	v_mul_f32_e32 v13, v11, v12
	v_fma_f32 v14, -v10, v13, v11
	v_fmac_f32_e32 v13, v14, v12
	v_fma_f32 v10, -v10, v13, v11
	v_div_fmas_f32 v10, v10, v12, v13
	v_div_fixup_f32 v8, v10, v9, v8
	ds_write_b32 v7, v8 offset:6156
.LBB8_36:
	s_or_b64 exec, exec, s[6:7]
	s_waitcnt lgkmcnt(0)
	s_barrier
	s_and_saveexec_b64 s[4:5], s[2:3]
	s_cbranch_execz .LBB8_40
; %bb.37:
	v_lshlrev_b32_e32 v7, 4, v0
	ds_read_b32 v8, v7 offset:8196
	v_cmp_ne_u32_e32 vcc, 0, v0
	v_lshlrev_b32_e32 v7, 2, v5
	s_and_saveexec_b64 s[2:3], vcc
	s_cbranch_execz .LBB8_39
; %bb.38:
	ds_read_b32 v9, v7 offset:4
	ds_read_b32 v10, v7 offset:6140
	s_waitcnt lgkmcnt(0)
	v_fma_f32 v8, -v9, v10, v8
.LBB8_39:
	s_or_b64 exec, exec, s[2:3]
	v_add_u32_e32 v9, 4, v7
	ds_read_b32 v11, v7 offset:6156
	ds_read2st64_b32 v[9:10], v9 offset0:8 offset1:16
	s_waitcnt lgkmcnt(0)
	v_fma_f32 v8, -v10, v11, v8
	v_div_scale_f32 v10, s[2:3], v9, v9, v8
	v_div_scale_f32 v11, vcc, v8, v9, v8
	v_rcp_f32_e32 v12, v10
	v_fma_f32 v13, -v10, v12, 1.0
	v_fmac_f32_e32 v12, v13, v12
	v_mul_f32_e32 v13, v11, v12
	v_fma_f32 v14, -v10, v13, v11
	v_fmac_f32_e32 v13, v14, v12
	v_fma_f32 v10, -v10, v13, v11
	v_div_fmas_f32 v10, v10, v12, v13
	v_div_fixup_f32 v8, v10, v9, v8
	ds_write_b32 v7, v8 offset:6148
.LBB8_40:
	s_or_b64 exec, exec, s[4:5]
	s_waitcnt lgkmcnt(0)
	s_barrier
	s_and_saveexec_b64 s[2:3], s[0:1]
	s_cbranch_execz .LBB8_44
; %bb.41:
	ds_read_b32 v6, v6 offset:8192
	v_lshlrev_b32_e32 v7, 1, v0
	v_cmp_ne_u32_e32 vcc, 0, v0
	v_lshlrev_b32_e32 v0, 2, v7
	s_and_saveexec_b64 s[0:1], vcc
	s_cbranch_execz .LBB8_43
; %bb.42:
	ds_read_b32 v7, v0
	ds_read_b32 v8, v0 offset:6140
	s_waitcnt lgkmcnt(0)
	v_fma_f32 v6, -v7, v8, v6
.LBB8_43:
	s_or_b64 exec, exec, s[0:1]
	ds_read2st64_b32 v[7:8], v0 offset0:8 offset1:16
	ds_read_b32 v9, v0 offset:6148
	s_waitcnt lgkmcnt(0)
	v_fma_f32 v6, -v8, v9, v6
	v_div_scale_f32 v8, s[0:1], v7, v7, v6
	v_div_scale_f32 v9, vcc, v6, v7, v6
	v_rcp_f32_e32 v10, v8
	v_fma_f32 v11, -v8, v10, 1.0
	v_fmac_f32_e32 v10, v11, v10
	v_mul_f32_e32 v11, v9, v10
	v_fma_f32 v12, -v8, v11, v9
	v_fmac_f32_e32 v11, v12, v10
	v_fma_f32 v8, -v8, v11, v9
	v_div_fmas_f32 v8, v8, v10, v11
	v_div_fixup_f32 v6, v8, v7, v6
	ds_write_b32 v0, v6 offset:6144
.LBB8_44:
	s_or_b64 exec, exec, s[2:3]
	s_waitcnt lgkmcnt(0)
	s_barrier
	ds_read2st64_b32 v[5:6], v5 offset0:24 offset1:28
	s_waitcnt lgkmcnt(0)
	global_store_dword v[1:2], v5, off
	global_store_dword v[3:4], v6, off
	s_endpgm
	.section	.rodata,"a",@progbits
	.p2align	6, 0x0
	.amdhsa_kernel _ZN9rocsparseL37gtsv_nopivot_crpcr_pow2_shared_kernelILj256ELj64EfEEviiiPKT1_S3_S3_PS1_
		.amdhsa_group_segment_fixed_size 11520
		.amdhsa_private_segment_fixed_size 0
		.amdhsa_kernarg_size 48
		.amdhsa_user_sgpr_count 6
		.amdhsa_user_sgpr_private_segment_buffer 1
		.amdhsa_user_sgpr_dispatch_ptr 0
		.amdhsa_user_sgpr_queue_ptr 0
		.amdhsa_user_sgpr_kernarg_segment_ptr 1
		.amdhsa_user_sgpr_dispatch_id 0
		.amdhsa_user_sgpr_flat_scratch_init 0
		.amdhsa_user_sgpr_private_segment_size 0
		.amdhsa_uses_dynamic_stack 0
		.amdhsa_system_sgpr_private_segment_wavefront_offset 0
		.amdhsa_system_sgpr_workgroup_id_x 1
		.amdhsa_system_sgpr_workgroup_id_y 0
		.amdhsa_system_sgpr_workgroup_id_z 0
		.amdhsa_system_sgpr_workgroup_info 0
		.amdhsa_system_vgpr_workitem_id 0
		.amdhsa_next_free_vgpr 41
		.amdhsa_next_free_sgpr 98
		.amdhsa_reserve_vcc 1
		.amdhsa_reserve_flat_scratch 0
		.amdhsa_float_round_mode_32 0
		.amdhsa_float_round_mode_16_64 0
		.amdhsa_float_denorm_mode_32 3
		.amdhsa_float_denorm_mode_16_64 3
		.amdhsa_dx10_clamp 1
		.amdhsa_ieee_mode 1
		.amdhsa_fp16_overflow 0
		.amdhsa_exception_fp_ieee_invalid_op 0
		.amdhsa_exception_fp_denorm_src 0
		.amdhsa_exception_fp_ieee_div_zero 0
		.amdhsa_exception_fp_ieee_overflow 0
		.amdhsa_exception_fp_ieee_underflow 0
		.amdhsa_exception_fp_ieee_inexact 0
		.amdhsa_exception_int_div_zero 0
	.end_amdhsa_kernel
	.section	.text._ZN9rocsparseL37gtsv_nopivot_crpcr_pow2_shared_kernelILj256ELj64EfEEviiiPKT1_S3_S3_PS1_,"axG",@progbits,_ZN9rocsparseL37gtsv_nopivot_crpcr_pow2_shared_kernelILj256ELj64EfEEviiiPKT1_S3_S3_PS1_,comdat
.Lfunc_end8:
	.size	_ZN9rocsparseL37gtsv_nopivot_crpcr_pow2_shared_kernelILj256ELj64EfEEviiiPKT1_S3_S3_PS1_, .Lfunc_end8-_ZN9rocsparseL37gtsv_nopivot_crpcr_pow2_shared_kernelILj256ELj64EfEEviiiPKT1_S3_S3_PS1_
                                        ; -- End function
	.set _ZN9rocsparseL37gtsv_nopivot_crpcr_pow2_shared_kernelILj256ELj64EfEEviiiPKT1_S3_S3_PS1_.num_vgpr, 31
	.set _ZN9rocsparseL37gtsv_nopivot_crpcr_pow2_shared_kernelILj256ELj64EfEEviiiPKT1_S3_S3_PS1_.num_agpr, 0
	.set _ZN9rocsparseL37gtsv_nopivot_crpcr_pow2_shared_kernelILj256ELj64EfEEviiiPKT1_S3_S3_PS1_.numbered_sgpr, 16
	.set _ZN9rocsparseL37gtsv_nopivot_crpcr_pow2_shared_kernelILj256ELj64EfEEviiiPKT1_S3_S3_PS1_.num_named_barrier, 0
	.set _ZN9rocsparseL37gtsv_nopivot_crpcr_pow2_shared_kernelILj256ELj64EfEEviiiPKT1_S3_S3_PS1_.private_seg_size, 0
	.set _ZN9rocsparseL37gtsv_nopivot_crpcr_pow2_shared_kernelILj256ELj64EfEEviiiPKT1_S3_S3_PS1_.uses_vcc, 1
	.set _ZN9rocsparseL37gtsv_nopivot_crpcr_pow2_shared_kernelILj256ELj64EfEEviiiPKT1_S3_S3_PS1_.uses_flat_scratch, 0
	.set _ZN9rocsparseL37gtsv_nopivot_crpcr_pow2_shared_kernelILj256ELj64EfEEviiiPKT1_S3_S3_PS1_.has_dyn_sized_stack, 0
	.set _ZN9rocsparseL37gtsv_nopivot_crpcr_pow2_shared_kernelILj256ELj64EfEEviiiPKT1_S3_S3_PS1_.has_recursion, 0
	.set _ZN9rocsparseL37gtsv_nopivot_crpcr_pow2_shared_kernelILj256ELj64EfEEviiiPKT1_S3_S3_PS1_.has_indirect_call, 0
	.section	.AMDGPU.csdata,"",@progbits
; Kernel info:
; codeLenInByte = 4120
; TotalNumSgprs: 20
; NumVgprs: 31
; ScratchSize: 0
; MemoryBound: 0
; FloatMode: 240
; IeeeMode: 1
; LDSByteSize: 11520 bytes/workgroup (compile time only)
; SGPRBlocks: 12
; VGPRBlocks: 10
; NumSGPRsForWavesPerEU: 102
; NumVGPRsForWavesPerEU: 41
; Occupancy: 5
; WaveLimiterHint : 1
; COMPUTE_PGM_RSRC2:SCRATCH_EN: 0
; COMPUTE_PGM_RSRC2:USER_SGPR: 6
; COMPUTE_PGM_RSRC2:TRAP_HANDLER: 0
; COMPUTE_PGM_RSRC2:TGID_X_EN: 1
; COMPUTE_PGM_RSRC2:TGID_Y_EN: 0
; COMPUTE_PGM_RSRC2:TGID_Z_EN: 0
; COMPUTE_PGM_RSRC2:TIDIG_COMP_CNT: 0
	.section	.text._ZN9rocsparseL30gtsv_nopivot_pcr_shared_kernelILj4EfEEviiiPKT0_S3_S3_PS1_,"axG",@progbits,_ZN9rocsparseL30gtsv_nopivot_pcr_shared_kernelILj4EfEEviiiPKT0_S3_S3_PS1_,comdat
	.globl	_ZN9rocsparseL30gtsv_nopivot_pcr_shared_kernelILj4EfEEviiiPKT0_S3_S3_PS1_ ; -- Begin function _ZN9rocsparseL30gtsv_nopivot_pcr_shared_kernelILj4EfEEviiiPKT0_S3_S3_PS1_
	.p2align	8
	.type	_ZN9rocsparseL30gtsv_nopivot_pcr_shared_kernelILj4EfEEviiiPKT0_S3_S3_PS1_,@function
_ZN9rocsparseL30gtsv_nopivot_pcr_shared_kernelILj4EfEEviiiPKT0_S3_S3_PS1_: ; @_ZN9rocsparseL30gtsv_nopivot_pcr_shared_kernelILj4EfEEviiiPKT0_S3_S3_PS1_
; %bb.0:
	s_load_dword s7, s[4:5], 0x0
	v_mov_b32_e32 v1, 0
	v_lshlrev_b32_e32 v3, 2, v0
	v_mov_b32_e32 v2, 0
	s_waitcnt lgkmcnt(0)
	v_cmp_gt_i32_e64 s[0:1], s7, v0
	s_and_saveexec_b64 s[2:3], s[0:1]
	s_cbranch_execz .LBB9_2
; %bb.1:
	s_load_dwordx2 s[8:9], s[4:5], 0x10
	s_waitcnt lgkmcnt(0)
	global_load_dword v2, v3, s[8:9]
.LBB9_2:
	s_or_b64 exec, exec, s[2:3]
	s_waitcnt vmcnt(0)
	ds_write_b32 v3, v2
	s_and_saveexec_b64 s[2:3], s[0:1]
	s_cbranch_execz .LBB9_4
; %bb.3:
	s_load_dwordx2 s[8:9], s[4:5], 0x18
	s_waitcnt lgkmcnt(0)
	global_load_dword v1, v3, s[8:9]
.LBB9_4:
	s_or_b64 exec, exec, s[2:3]
	s_load_dwordx2 s[8:9], s[4:5], 0x28
	s_waitcnt vmcnt(0)
	ds_write_b32 v3, v1 offset:16
	v_mov_b32_e32 v2, 0
	v_mov_b32_e32 v1, 0
	s_and_saveexec_b64 s[2:3], s[0:1]
	s_cbranch_execz .LBB9_6
; %bb.5:
	s_load_dwordx2 s[10:11], s[4:5], 0x20
	s_waitcnt lgkmcnt(0)
	global_load_dword v1, v3, s[10:11]
.LBB9_6:
	s_or_b64 exec, exec, s[2:3]
	s_load_dword s2, s[4:5], 0x8
	v_or_b32_e32 v4, 16, v3
	v_or_b32_e32 v5, 32, v3
	s_waitcnt vmcnt(0)
	ds_write_b32 v3, v1 offset:32
	s_waitcnt lgkmcnt(0)
	s_mul_i32 s2, s2, s6
	v_add_u32_e32 v1, s2, v0
	s_and_saveexec_b64 s[2:3], s[0:1]
	s_cbranch_execz .LBB9_8
; %bb.7:
	v_mov_b32_e32 v2, 0
	v_lshlrev_b64 v[6:7], 2, v[1:2]
	v_mov_b32_e32 v2, s9
	v_add_co_u32_e32 v6, vcc, s8, v6
	v_addc_co_u32_e32 v7, vcc, v2, v7, vcc
	global_load_dword v2, v[6:7], off
.LBB9_8:
	s_or_b64 exec, exec, s[2:3]
	s_waitcnt vmcnt(0)
	ds_write_b32 v3, v2 offset:64
	v_sub_u32_e64 v2, v0, 1 clamp
	v_lshlrev_b32_e32 v2, 2, v2
	s_waitcnt lgkmcnt(0)
	; wave barrier
	ds_read2_b32 v[6:7], v2 offset1:4
	ds_read_b32 v14, v3
	ds_read_b32 v15, v3 offset:64
	v_add_u32_e32 v8, 1, v0
	ds_read_b32 v16, v5
	ds_read_b32 v17, v4
	s_waitcnt lgkmcnt(3)
	v_div_scale_f32 v10, s[2:3], v7, v7, v14
	v_div_scale_f32 v11, vcc, v14, v7, v14
	s_add_i32 s2, s7, -1
	v_min_i32_e32 v8, s2, v8
	v_lshlrev_b32_e32 v12, 2, v8
	ds_read2_b32 v[8:9], v12 offset1:4
	s_waitcnt lgkmcnt(0)
	v_div_scale_f32 v18, s[2:3], v9, v9, v16
	v_rcp_f32_e32 v13, v10
	v_fma_f32 v19, -v10, v13, 1.0
	v_fmac_f32_e32 v13, v19, v13
	v_mul_f32_e32 v19, v11, v13
	v_fma_f32 v20, -v10, v19, v11
	v_fmac_f32_e32 v19, v20, v13
	v_div_scale_f32 v20, s[2:3], v16, v9, v16
	v_fma_f32 v10, -v10, v19, v11
	v_rcp_f32_e32 v11, v18
	v_div_fmas_f32 v19, v10, v13, v19
	s_mov_b64 vcc, s[2:3]
	v_fma_f32 v10, -v18, v11, 1.0
	v_fmac_f32_e32 v11, v10, v11
	v_mul_f32_e32 v10, v20, v11
	v_fma_f32 v13, -v18, v10, v20
	v_fmac_f32_e32 v10, v13, v11
	v_fma_f32 v13, -v18, v10, v20
	v_div_fmas_f32 v18, v13, v11, v10
	ds_read2_b32 v[10:11], v2 offset0:8 offset1:16
	ds_read2_b32 v[12:13], v12 offset0:8 offset1:16
	v_div_fixup_f32 v2, v19, v7, v14
	v_cmp_gt_u32_e32 vcc, 2, v0
	s_waitcnt lgkmcnt(0)
	; wave barrier
	v_div_fixup_f32 v7, v18, v9, v16
	v_fma_f32 v9, -v2, v10, v17
	v_fma_f32 v10, -v2, v11, v15
	v_mul_f32_e64 v2, v2, -v6
	v_fma_f32 v6, -v7, v8, v9
	v_fma_f32 v8, -v7, v13, v10
	v_mul_f32_e64 v7, v7, -v12
	ds_write_b32 v4, v6
	ds_write_b32 v3, v8 offset:64
	ds_write_b32 v3, v2
	ds_write_b32 v5, v7
	s_waitcnt lgkmcnt(0)
	; wave barrier
	s_and_saveexec_b64 s[2:3], vcc
	s_cbranch_execz .LBB9_14
; %bb.9:
	v_or_b32_e32 v2, 2, v0
	v_or_b32_e32 v6, 64, v3
	v_cmp_le_i32_e32 vcc, s7, v2
                                        ; implicit-def: $vgpr7
	s_and_saveexec_b64 s[4:5], vcc
	s_xor_b64 s[4:5], exec, s[4:5]
	s_cbranch_execz .LBB9_11
; %bb.10:
	ds_read_b32 v2, v6
	ds_read_b32 v4, v4
	s_waitcnt lgkmcnt(0)
	v_div_scale_f32 v5, s[6:7], v4, v4, v2
	v_div_scale_f32 v6, vcc, v2, v4, v2
	v_rcp_f32_e32 v7, v5
	v_fma_f32 v8, -v5, v7, 1.0
	v_fmac_f32_e32 v7, v8, v7
	v_mul_f32_e32 v8, v6, v7
	v_fma_f32 v9, -v5, v8, v6
	v_fmac_f32_e32 v8, v9, v7
	v_fma_f32 v5, -v5, v8, v6
	v_div_fmas_f32 v5, v5, v7, v8
                                        ; implicit-def: $vgpr6
	v_div_fixup_f32 v7, v5, v4, v2
                                        ; implicit-def: $vgpr4
                                        ; implicit-def: $vgpr5
                                        ; implicit-def: $vgpr2
.LBB9_11:
	s_andn2_saveexec_b64 s[4:5], s[4:5]
	s_cbranch_execz .LBB9_13
; %bb.12:
	ds_read_b32 v0, v5
	ds_read_b32 v8, v3 offset:8
	ds_read2_b32 v[4:5], v4 offset1:2
	s_waitcnt lgkmcnt(1)
	v_mul_f32_e32 v7, v0, v8
	s_waitcnt lgkmcnt(0)
	v_fma_f32 v9, v5, v4, -v7
	v_div_scale_f32 v7, s[6:7], v9, v9, 1.0
	v_div_scale_f32 v10, vcc, 1.0, v9, 1.0
	v_rcp_f32_e32 v11, v7
	v_fma_f32 v12, -v7, v11, 1.0
	v_fmac_f32_e32 v11, v12, v11
	v_mul_f32_e32 v12, v10, v11
	v_fma_f32 v13, -v7, v12, v10
	v_fmac_f32_e32 v12, v13, v11
	v_fma_f32 v7, -v7, v12, v10
	v_div_fmas_f32 v10, v7, v11, v12
	ds_read2_b32 v[6:7], v6 offset1:2
	s_waitcnt lgkmcnt(0)
	v_mul_f32_e32 v0, v0, v7
	v_mul_f32_e32 v8, v8, v6
	v_fma_f32 v0, v5, v6, -v0
	v_fma_f32 v4, v4, v7, -v8
	v_div_fixup_f32 v5, v10, v9, 1.0
	v_mul_f32_e32 v0, v5, v0
	v_mul_f32_e32 v7, v5, v4
	ds_write_b32 v3, v0 offset:48
	v_mov_b32_e32 v0, v2
.LBB9_13:
	s_or_b64 exec, exec, s[4:5]
	v_lshlrev_b32_e32 v0, 2, v0
	ds_write_b32 v0, v7 offset:48
.LBB9_14:
	s_or_b64 exec, exec, s[2:3]
	s_waitcnt lgkmcnt(0)
	; wave barrier
	s_and_saveexec_b64 s[2:3], s[0:1]
	s_cbranch_execz .LBB9_16
; %bb.15:
	v_mov_b32_e32 v2, 0
	ds_read_b32 v3, v3 offset:48
	v_lshlrev_b64 v[0:1], 2, v[1:2]
	v_mov_b32_e32 v2, s9
	v_add_co_u32_e32 v0, vcc, s8, v0
	v_addc_co_u32_e32 v1, vcc, v2, v1, vcc
	s_waitcnt lgkmcnt(0)
	global_store_dword v[0:1], v3, off
.LBB9_16:
	s_endpgm
	.section	.rodata,"a",@progbits
	.p2align	6, 0x0
	.amdhsa_kernel _ZN9rocsparseL30gtsv_nopivot_pcr_shared_kernelILj4EfEEviiiPKT0_S3_S3_PS1_
		.amdhsa_group_segment_fixed_size 80
		.amdhsa_private_segment_fixed_size 0
		.amdhsa_kernarg_size 48
		.amdhsa_user_sgpr_count 6
		.amdhsa_user_sgpr_private_segment_buffer 1
		.amdhsa_user_sgpr_dispatch_ptr 0
		.amdhsa_user_sgpr_queue_ptr 0
		.amdhsa_user_sgpr_kernarg_segment_ptr 1
		.amdhsa_user_sgpr_dispatch_id 0
		.amdhsa_user_sgpr_flat_scratch_init 0
		.amdhsa_user_sgpr_private_segment_size 0
		.amdhsa_uses_dynamic_stack 0
		.amdhsa_system_sgpr_private_segment_wavefront_offset 0
		.amdhsa_system_sgpr_workgroup_id_x 1
		.amdhsa_system_sgpr_workgroup_id_y 0
		.amdhsa_system_sgpr_workgroup_id_z 0
		.amdhsa_system_sgpr_workgroup_info 0
		.amdhsa_system_vgpr_workitem_id 0
		.amdhsa_next_free_vgpr 21
		.amdhsa_next_free_sgpr 12
		.amdhsa_reserve_vcc 1
		.amdhsa_reserve_flat_scratch 0
		.amdhsa_float_round_mode_32 0
		.amdhsa_float_round_mode_16_64 0
		.amdhsa_float_denorm_mode_32 3
		.amdhsa_float_denorm_mode_16_64 3
		.amdhsa_dx10_clamp 1
		.amdhsa_ieee_mode 1
		.amdhsa_fp16_overflow 0
		.amdhsa_exception_fp_ieee_invalid_op 0
		.amdhsa_exception_fp_denorm_src 0
		.amdhsa_exception_fp_ieee_div_zero 0
		.amdhsa_exception_fp_ieee_overflow 0
		.amdhsa_exception_fp_ieee_underflow 0
		.amdhsa_exception_fp_ieee_inexact 0
		.amdhsa_exception_int_div_zero 0
	.end_amdhsa_kernel
	.section	.text._ZN9rocsparseL30gtsv_nopivot_pcr_shared_kernelILj4EfEEviiiPKT0_S3_S3_PS1_,"axG",@progbits,_ZN9rocsparseL30gtsv_nopivot_pcr_shared_kernelILj4EfEEviiiPKT0_S3_S3_PS1_,comdat
.Lfunc_end9:
	.size	_ZN9rocsparseL30gtsv_nopivot_pcr_shared_kernelILj4EfEEviiiPKT0_S3_S3_PS1_, .Lfunc_end9-_ZN9rocsparseL30gtsv_nopivot_pcr_shared_kernelILj4EfEEviiiPKT0_S3_S3_PS1_
                                        ; -- End function
	.set _ZN9rocsparseL30gtsv_nopivot_pcr_shared_kernelILj4EfEEviiiPKT0_S3_S3_PS1_.num_vgpr, 21
	.set _ZN9rocsparseL30gtsv_nopivot_pcr_shared_kernelILj4EfEEviiiPKT0_S3_S3_PS1_.num_agpr, 0
	.set _ZN9rocsparseL30gtsv_nopivot_pcr_shared_kernelILj4EfEEviiiPKT0_S3_S3_PS1_.numbered_sgpr, 12
	.set _ZN9rocsparseL30gtsv_nopivot_pcr_shared_kernelILj4EfEEviiiPKT0_S3_S3_PS1_.num_named_barrier, 0
	.set _ZN9rocsparseL30gtsv_nopivot_pcr_shared_kernelILj4EfEEviiiPKT0_S3_S3_PS1_.private_seg_size, 0
	.set _ZN9rocsparseL30gtsv_nopivot_pcr_shared_kernelILj4EfEEviiiPKT0_S3_S3_PS1_.uses_vcc, 1
	.set _ZN9rocsparseL30gtsv_nopivot_pcr_shared_kernelILj4EfEEviiiPKT0_S3_S3_PS1_.uses_flat_scratch, 0
	.set _ZN9rocsparseL30gtsv_nopivot_pcr_shared_kernelILj4EfEEviiiPKT0_S3_S3_PS1_.has_dyn_sized_stack, 0
	.set _ZN9rocsparseL30gtsv_nopivot_pcr_shared_kernelILj4EfEEviiiPKT0_S3_S3_PS1_.has_recursion, 0
	.set _ZN9rocsparseL30gtsv_nopivot_pcr_shared_kernelILj4EfEEviiiPKT0_S3_S3_PS1_.has_indirect_call, 0
	.section	.AMDGPU.csdata,"",@progbits
; Kernel info:
; codeLenInByte = 992
; TotalNumSgprs: 16
; NumVgprs: 21
; ScratchSize: 0
; MemoryBound: 0
; FloatMode: 240
; IeeeMode: 1
; LDSByteSize: 80 bytes/workgroup (compile time only)
; SGPRBlocks: 1
; VGPRBlocks: 5
; NumSGPRsForWavesPerEU: 16
; NumVGPRsForWavesPerEU: 21
; Occupancy: 10
; WaveLimiterHint : 0
; COMPUTE_PGM_RSRC2:SCRATCH_EN: 0
; COMPUTE_PGM_RSRC2:USER_SGPR: 6
; COMPUTE_PGM_RSRC2:TRAP_HANDLER: 0
; COMPUTE_PGM_RSRC2:TGID_X_EN: 1
; COMPUTE_PGM_RSRC2:TGID_Y_EN: 0
; COMPUTE_PGM_RSRC2:TGID_Z_EN: 0
; COMPUTE_PGM_RSRC2:TIDIG_COMP_CNT: 0
	.section	.text._ZN9rocsparseL30gtsv_nopivot_pcr_shared_kernelILj8EfEEviiiPKT0_S3_S3_PS1_,"axG",@progbits,_ZN9rocsparseL30gtsv_nopivot_pcr_shared_kernelILj8EfEEviiiPKT0_S3_S3_PS1_,comdat
	.globl	_ZN9rocsparseL30gtsv_nopivot_pcr_shared_kernelILj8EfEEviiiPKT0_S3_S3_PS1_ ; -- Begin function _ZN9rocsparseL30gtsv_nopivot_pcr_shared_kernelILj8EfEEviiiPKT0_S3_S3_PS1_
	.p2align	8
	.type	_ZN9rocsparseL30gtsv_nopivot_pcr_shared_kernelILj8EfEEviiiPKT0_S3_S3_PS1_,@function
_ZN9rocsparseL30gtsv_nopivot_pcr_shared_kernelILj8EfEEviiiPKT0_S3_S3_PS1_: ; @_ZN9rocsparseL30gtsv_nopivot_pcr_shared_kernelILj8EfEEviiiPKT0_S3_S3_PS1_
; %bb.0:
	s_load_dword s7, s[4:5], 0x0
	v_mov_b32_e32 v1, 0
	v_lshlrev_b32_e32 v3, 2, v0
	v_mov_b32_e32 v2, 0
	s_waitcnt lgkmcnt(0)
	v_cmp_gt_i32_e64 s[0:1], s7, v0
	s_and_saveexec_b64 s[2:3], s[0:1]
	s_cbranch_execz .LBB10_2
; %bb.1:
	s_load_dwordx2 s[8:9], s[4:5], 0x10
	s_waitcnt lgkmcnt(0)
	global_load_dword v2, v3, s[8:9]
.LBB10_2:
	s_or_b64 exec, exec, s[2:3]
	s_waitcnt vmcnt(0)
	ds_write_b32 v3, v2
	s_and_saveexec_b64 s[2:3], s[0:1]
	s_cbranch_execz .LBB10_4
; %bb.3:
	s_load_dwordx2 s[8:9], s[4:5], 0x18
	s_waitcnt lgkmcnt(0)
	global_load_dword v1, v3, s[8:9]
.LBB10_4:
	s_or_b64 exec, exec, s[2:3]
	s_load_dwordx2 s[8:9], s[4:5], 0x28
	s_waitcnt vmcnt(0)
	ds_write_b32 v3, v1 offset:32
	v_mov_b32_e32 v2, 0
	v_mov_b32_e32 v1, 0
	s_and_saveexec_b64 s[2:3], s[0:1]
	s_cbranch_execz .LBB10_6
; %bb.5:
	s_load_dwordx2 s[10:11], s[4:5], 0x20
	s_waitcnt lgkmcnt(0)
	global_load_dword v1, v3, s[10:11]
.LBB10_6:
	s_or_b64 exec, exec, s[2:3]
	s_load_dword s2, s[4:5], 0x8
	v_or_b32_e32 v4, 32, v3
	v_or_b32_e32 v5, 64, v3
	s_waitcnt vmcnt(0)
	ds_write_b32 v3, v1 offset:64
	s_waitcnt lgkmcnt(0)
	s_mul_i32 s2, s2, s6
	v_add_u32_e32 v1, s2, v0
	s_and_saveexec_b64 s[2:3], s[0:1]
	s_cbranch_execz .LBB10_8
; %bb.7:
	v_mov_b32_e32 v2, 0
	v_lshlrev_b64 v[6:7], 2, v[1:2]
	v_mov_b32_e32 v2, s9
	v_add_co_u32_e32 v6, vcc, s8, v6
	v_addc_co_u32_e32 v7, vcc, v2, v7, vcc
	global_load_dword v2, v[6:7], off
.LBB10_8:
	s_or_b64 exec, exec, s[2:3]
	s_waitcnt vmcnt(0)
	ds_write_b32 v3, v2 offset:128
	v_sub_u32_e64 v2, v0, 1 clamp
	v_lshlrev_b32_e32 v2, 2, v2
	s_waitcnt lgkmcnt(0)
	; wave barrier
	ds_read2_b32 v[6:7], v2 offset1:8
	ds_read_b32 v14, v3
	ds_read_b32 v15, v3 offset:128
	s_add_i32 s4, s7, -1
	v_add_u32_e32 v8, 1, v0
	v_min_i32_e32 v8, s4, v8
	s_waitcnt lgkmcnt(1)
	v_div_scale_f32 v10, s[2:3], v7, v7, v14
	v_div_scale_f32 v11, vcc, v14, v7, v14
	v_lshlrev_b32_e32 v12, 2, v8
	ds_read_b32 v16, v5
	ds_read_b32 v17, v4
	ds_read2_b32 v[8:9], v12 offset1:8
	s_waitcnt lgkmcnt(0)
	v_div_scale_f32 v18, s[2:3], v9, v9, v16
	v_rcp_f32_e32 v13, v10
	v_fma_f32 v19, -v10, v13, 1.0
	v_fmac_f32_e32 v13, v19, v13
	v_mul_f32_e32 v19, v11, v13
	v_fma_f32 v20, -v10, v19, v11
	v_fmac_f32_e32 v19, v20, v13
	v_div_scale_f32 v20, s[2:3], v16, v9, v16
	v_fma_f32 v10, -v10, v19, v11
	v_rcp_f32_e32 v11, v18
	v_div_fmas_f32 v19, v10, v13, v19
	s_mov_b64 vcc, s[2:3]
	v_fma_f32 v10, -v18, v11, 1.0
	v_fmac_f32_e32 v11, v10, v11
	v_mul_f32_e32 v10, v20, v11
	v_fma_f32 v13, -v18, v10, v20
	v_fmac_f32_e32 v10, v13, v11
	v_fma_f32 v13, -v18, v10, v20
	v_div_fmas_f32 v18, v13, v11, v10
	ds_read2_b32 v[10:11], v2 offset0:16 offset1:32
	ds_read2_b32 v[12:13], v12 offset0:16 offset1:32
	v_div_fixup_f32 v2, v19, v7, v14
	s_waitcnt lgkmcnt(0)
	; wave barrier
	v_div_fixup_f32 v7, v18, v9, v16
	v_fma_f32 v9, -v2, v10, v17
	v_fma_f32 v10, -v2, v11, v15
	v_mul_f32_e64 v2, v2, -v6
	v_fma_f32 v6, -v7, v8, v9
	v_fma_f32 v8, -v7, v13, v10
	v_mul_f32_e64 v7, v7, -v12
	ds_write_b32 v4, v6
	ds_write_b32 v3, v8 offset:128
	ds_write_b32 v3, v2
	ds_write_b32 v5, v7
	v_sub_u32_e64 v2, v0, 2 clamp
	v_lshlrev_b32_e32 v2, 2, v2
	s_waitcnt lgkmcnt(0)
	; wave barrier
	ds_read2_b32 v[6:7], v2 offset1:8
	ds_read_b32 v14, v3
	ds_read_b32 v15, v3 offset:128
	v_add_u32_e32 v8, 2, v0
	v_min_i32_e32 v8, s4, v8
	v_lshlrev_b32_e32 v12, 2, v8
	s_waitcnt lgkmcnt(1)
	v_div_scale_f32 v10, s[2:3], v7, v7, v14
	v_div_scale_f32 v11, vcc, v14, v7, v14
	ds_read_b32 v16, v5
	ds_read_b32 v17, v4
	ds_read2_b32 v[8:9], v12 offset1:8
	s_waitcnt lgkmcnt(0)
	v_div_scale_f32 v18, s[2:3], v9, v9, v16
	v_rcp_f32_e32 v13, v10
	v_fma_f32 v19, -v10, v13, 1.0
	v_fmac_f32_e32 v13, v19, v13
	v_mul_f32_e32 v19, v11, v13
	v_fma_f32 v20, -v10, v19, v11
	v_fmac_f32_e32 v19, v20, v13
	v_div_scale_f32 v20, s[2:3], v16, v9, v16
	v_fma_f32 v10, -v10, v19, v11
	v_rcp_f32_e32 v11, v18
	v_div_fmas_f32 v19, v10, v13, v19
	s_mov_b64 vcc, s[2:3]
	v_fma_f32 v10, -v18, v11, 1.0
	v_fmac_f32_e32 v11, v10, v11
	v_mul_f32_e32 v10, v20, v11
	v_fma_f32 v13, -v18, v10, v20
	v_fmac_f32_e32 v10, v13, v11
	v_fma_f32 v13, -v18, v10, v20
	v_div_fmas_f32 v18, v13, v11, v10
	ds_read2_b32 v[10:11], v2 offset0:16 offset1:32
	ds_read2_b32 v[12:13], v12 offset0:16 offset1:32
	v_div_fixup_f32 v2, v19, v7, v14
	v_cmp_gt_u32_e32 vcc, 4, v0
	s_waitcnt lgkmcnt(0)
	; wave barrier
	v_div_fixup_f32 v7, v18, v9, v16
	v_fma_f32 v9, -v2, v10, v17
	v_fma_f32 v8, -v7, v8, v9
	;; [unrolled: 1-line block ×4, first 2 shown]
	v_mul_f32_e64 v2, v2, -v6
	v_mul_f32_e64 v6, v7, -v12
	ds_write_b32 v4, v8
	ds_write_b32 v3, v9 offset:128
	ds_write_b32 v3, v2
	ds_write_b32 v5, v6
	s_waitcnt lgkmcnt(0)
	; wave barrier
	s_and_saveexec_b64 s[2:3], vcc
	s_cbranch_execz .LBB10_14
; %bb.9:
	v_or_b32_e32 v2, 4, v0
	v_or_b32_e32 v6, 0x80, v3
	v_cmp_le_i32_e32 vcc, s7, v2
                                        ; implicit-def: $vgpr7
	s_and_saveexec_b64 s[4:5], vcc
	s_xor_b64 s[4:5], exec, s[4:5]
	s_cbranch_execz .LBB10_11
; %bb.10:
	ds_read_b32 v2, v6
	ds_read_b32 v4, v4
	s_waitcnt lgkmcnt(0)
	v_div_scale_f32 v5, s[6:7], v4, v4, v2
	v_div_scale_f32 v6, vcc, v2, v4, v2
	v_rcp_f32_e32 v7, v5
	v_fma_f32 v8, -v5, v7, 1.0
	v_fmac_f32_e32 v7, v8, v7
	v_mul_f32_e32 v8, v6, v7
	v_fma_f32 v9, -v5, v8, v6
	v_fmac_f32_e32 v8, v9, v7
	v_fma_f32 v5, -v5, v8, v6
	v_div_fmas_f32 v5, v5, v7, v8
                                        ; implicit-def: $vgpr6
	v_div_fixup_f32 v7, v5, v4, v2
                                        ; implicit-def: $vgpr4
                                        ; implicit-def: $vgpr5
                                        ; implicit-def: $vgpr2
.LBB10_11:
	s_andn2_saveexec_b64 s[4:5], s[4:5]
	s_cbranch_execz .LBB10_13
; %bb.12:
	ds_read_b32 v0, v5
	ds_read_b32 v8, v3 offset:16
	ds_read2_b32 v[4:5], v4 offset1:4
	s_waitcnt lgkmcnt(1)
	v_mul_f32_e32 v7, v0, v8
	s_waitcnt lgkmcnt(0)
	v_fma_f32 v9, v5, v4, -v7
	v_div_scale_f32 v7, s[6:7], v9, v9, 1.0
	v_div_scale_f32 v10, vcc, 1.0, v9, 1.0
	v_rcp_f32_e32 v11, v7
	v_fma_f32 v12, -v7, v11, 1.0
	v_fmac_f32_e32 v11, v12, v11
	v_mul_f32_e32 v12, v10, v11
	v_fma_f32 v13, -v7, v12, v10
	v_fmac_f32_e32 v12, v13, v11
	v_fma_f32 v7, -v7, v12, v10
	v_div_fmas_f32 v10, v7, v11, v12
	ds_read2_b32 v[6:7], v6 offset1:4
	s_waitcnt lgkmcnt(0)
	v_mul_f32_e32 v0, v0, v7
	v_mul_f32_e32 v8, v8, v6
	v_fma_f32 v0, v5, v6, -v0
	v_fma_f32 v4, v4, v7, -v8
	v_div_fixup_f32 v5, v10, v9, 1.0
	v_mul_f32_e32 v0, v5, v0
	v_mul_f32_e32 v7, v5, v4
	ds_write_b32 v3, v0 offset:96
	v_mov_b32_e32 v0, v2
.LBB10_13:
	s_or_b64 exec, exec, s[4:5]
	v_lshlrev_b32_e32 v0, 2, v0
	ds_write_b32 v0, v7 offset:96
.LBB10_14:
	s_or_b64 exec, exec, s[2:3]
	s_waitcnt lgkmcnt(0)
	; wave barrier
	s_and_saveexec_b64 s[2:3], s[0:1]
	s_cbranch_execz .LBB10_16
; %bb.15:
	v_mov_b32_e32 v2, 0
	ds_read_b32 v3, v3 offset:96
	v_lshlrev_b64 v[0:1], 2, v[1:2]
	v_mov_b32_e32 v2, s9
	v_add_co_u32_e32 v0, vcc, s8, v0
	v_addc_co_u32_e32 v1, vcc, v2, v1, vcc
	s_waitcnt lgkmcnt(0)
	global_store_dword v[0:1], v3, off
.LBB10_16:
	s_endpgm
	.section	.rodata,"a",@progbits
	.p2align	6, 0x0
	.amdhsa_kernel _ZN9rocsparseL30gtsv_nopivot_pcr_shared_kernelILj8EfEEviiiPKT0_S3_S3_PS1_
		.amdhsa_group_segment_fixed_size 160
		.amdhsa_private_segment_fixed_size 0
		.amdhsa_kernarg_size 48
		.amdhsa_user_sgpr_count 6
		.amdhsa_user_sgpr_private_segment_buffer 1
		.amdhsa_user_sgpr_dispatch_ptr 0
		.amdhsa_user_sgpr_queue_ptr 0
		.amdhsa_user_sgpr_kernarg_segment_ptr 1
		.amdhsa_user_sgpr_dispatch_id 0
		.amdhsa_user_sgpr_flat_scratch_init 0
		.amdhsa_user_sgpr_private_segment_size 0
		.amdhsa_uses_dynamic_stack 0
		.amdhsa_system_sgpr_private_segment_wavefront_offset 0
		.amdhsa_system_sgpr_workgroup_id_x 1
		.amdhsa_system_sgpr_workgroup_id_y 0
		.amdhsa_system_sgpr_workgroup_id_z 0
		.amdhsa_system_sgpr_workgroup_info 0
		.amdhsa_system_vgpr_workitem_id 0
		.amdhsa_next_free_vgpr 21
		.amdhsa_next_free_sgpr 12
		.amdhsa_reserve_vcc 1
		.amdhsa_reserve_flat_scratch 0
		.amdhsa_float_round_mode_32 0
		.amdhsa_float_round_mode_16_64 0
		.amdhsa_float_denorm_mode_32 3
		.amdhsa_float_denorm_mode_16_64 3
		.amdhsa_dx10_clamp 1
		.amdhsa_ieee_mode 1
		.amdhsa_fp16_overflow 0
		.amdhsa_exception_fp_ieee_invalid_op 0
		.amdhsa_exception_fp_denorm_src 0
		.amdhsa_exception_fp_ieee_div_zero 0
		.amdhsa_exception_fp_ieee_overflow 0
		.amdhsa_exception_fp_ieee_underflow 0
		.amdhsa_exception_fp_ieee_inexact 0
		.amdhsa_exception_int_div_zero 0
	.end_amdhsa_kernel
	.section	.text._ZN9rocsparseL30gtsv_nopivot_pcr_shared_kernelILj8EfEEviiiPKT0_S3_S3_PS1_,"axG",@progbits,_ZN9rocsparseL30gtsv_nopivot_pcr_shared_kernelILj8EfEEviiiPKT0_S3_S3_PS1_,comdat
.Lfunc_end10:
	.size	_ZN9rocsparseL30gtsv_nopivot_pcr_shared_kernelILj8EfEEviiiPKT0_S3_S3_PS1_, .Lfunc_end10-_ZN9rocsparseL30gtsv_nopivot_pcr_shared_kernelILj8EfEEviiiPKT0_S3_S3_PS1_
                                        ; -- End function
	.set _ZN9rocsparseL30gtsv_nopivot_pcr_shared_kernelILj8EfEEviiiPKT0_S3_S3_PS1_.num_vgpr, 21
	.set _ZN9rocsparseL30gtsv_nopivot_pcr_shared_kernelILj8EfEEviiiPKT0_S3_S3_PS1_.num_agpr, 0
	.set _ZN9rocsparseL30gtsv_nopivot_pcr_shared_kernelILj8EfEEviiiPKT0_S3_S3_PS1_.numbered_sgpr, 12
	.set _ZN9rocsparseL30gtsv_nopivot_pcr_shared_kernelILj8EfEEviiiPKT0_S3_S3_PS1_.num_named_barrier, 0
	.set _ZN9rocsparseL30gtsv_nopivot_pcr_shared_kernelILj8EfEEviiiPKT0_S3_S3_PS1_.private_seg_size, 0
	.set _ZN9rocsparseL30gtsv_nopivot_pcr_shared_kernelILj8EfEEviiiPKT0_S3_S3_PS1_.uses_vcc, 1
	.set _ZN9rocsparseL30gtsv_nopivot_pcr_shared_kernelILj8EfEEviiiPKT0_S3_S3_PS1_.uses_flat_scratch, 0
	.set _ZN9rocsparseL30gtsv_nopivot_pcr_shared_kernelILj8EfEEviiiPKT0_S3_S3_PS1_.has_dyn_sized_stack, 0
	.set _ZN9rocsparseL30gtsv_nopivot_pcr_shared_kernelILj8EfEEviiiPKT0_S3_S3_PS1_.has_recursion, 0
	.set _ZN9rocsparseL30gtsv_nopivot_pcr_shared_kernelILj8EfEEviiiPKT0_S3_S3_PS1_.has_indirect_call, 0
	.section	.AMDGPU.csdata,"",@progbits
; Kernel info:
; codeLenInByte = 1328
; TotalNumSgprs: 16
; NumVgprs: 21
; ScratchSize: 0
; MemoryBound: 0
; FloatMode: 240
; IeeeMode: 1
; LDSByteSize: 160 bytes/workgroup (compile time only)
; SGPRBlocks: 1
; VGPRBlocks: 5
; NumSGPRsForWavesPerEU: 16
; NumVGPRsForWavesPerEU: 21
; Occupancy: 10
; WaveLimiterHint : 0
; COMPUTE_PGM_RSRC2:SCRATCH_EN: 0
; COMPUTE_PGM_RSRC2:USER_SGPR: 6
; COMPUTE_PGM_RSRC2:TRAP_HANDLER: 0
; COMPUTE_PGM_RSRC2:TGID_X_EN: 1
; COMPUTE_PGM_RSRC2:TGID_Y_EN: 0
; COMPUTE_PGM_RSRC2:TGID_Z_EN: 0
; COMPUTE_PGM_RSRC2:TIDIG_COMP_CNT: 0
	.section	.text._ZN9rocsparseL30gtsv_nopivot_pcr_shared_kernelILj16EfEEviiiPKT0_S3_S3_PS1_,"axG",@progbits,_ZN9rocsparseL30gtsv_nopivot_pcr_shared_kernelILj16EfEEviiiPKT0_S3_S3_PS1_,comdat
	.globl	_ZN9rocsparseL30gtsv_nopivot_pcr_shared_kernelILj16EfEEviiiPKT0_S3_S3_PS1_ ; -- Begin function _ZN9rocsparseL30gtsv_nopivot_pcr_shared_kernelILj16EfEEviiiPKT0_S3_S3_PS1_
	.p2align	8
	.type	_ZN9rocsparseL30gtsv_nopivot_pcr_shared_kernelILj16EfEEviiiPKT0_S3_S3_PS1_,@function
_ZN9rocsparseL30gtsv_nopivot_pcr_shared_kernelILj16EfEEviiiPKT0_S3_S3_PS1_: ; @_ZN9rocsparseL30gtsv_nopivot_pcr_shared_kernelILj16EfEEviiiPKT0_S3_S3_PS1_
; %bb.0:
	s_load_dword s7, s[4:5], 0x0
	v_mov_b32_e32 v1, 0
	v_lshlrev_b32_e32 v3, 2, v0
	v_mov_b32_e32 v2, 0
	s_waitcnt lgkmcnt(0)
	v_cmp_gt_i32_e64 s[0:1], s7, v0
	s_and_saveexec_b64 s[2:3], s[0:1]
	s_cbranch_execz .LBB11_2
; %bb.1:
	s_load_dwordx2 s[8:9], s[4:5], 0x10
	s_waitcnt lgkmcnt(0)
	global_load_dword v2, v3, s[8:9]
.LBB11_2:
	s_or_b64 exec, exec, s[2:3]
	s_waitcnt vmcnt(0)
	ds_write_b32 v3, v2
	s_and_saveexec_b64 s[2:3], s[0:1]
	s_cbranch_execz .LBB11_4
; %bb.3:
	s_load_dwordx2 s[8:9], s[4:5], 0x18
	s_waitcnt lgkmcnt(0)
	global_load_dword v1, v3, s[8:9]
.LBB11_4:
	s_or_b64 exec, exec, s[2:3]
	s_load_dwordx2 s[8:9], s[4:5], 0x28
	s_waitcnt vmcnt(0)
	ds_write_b32 v3, v1 offset:64
	v_mov_b32_e32 v2, 0
	v_mov_b32_e32 v1, 0
	s_and_saveexec_b64 s[2:3], s[0:1]
	s_cbranch_execz .LBB11_6
; %bb.5:
	s_load_dwordx2 s[10:11], s[4:5], 0x20
	s_waitcnt lgkmcnt(0)
	global_load_dword v1, v3, s[10:11]
.LBB11_6:
	s_or_b64 exec, exec, s[2:3]
	s_load_dword s2, s[4:5], 0x8
	v_or_b32_e32 v4, 64, v3
	v_or_b32_e32 v5, 0x80, v3
	s_waitcnt vmcnt(0)
	ds_write_b32 v3, v1 offset:128
	s_waitcnt lgkmcnt(0)
	s_mul_i32 s2, s2, s6
	v_add_u32_e32 v1, s2, v0
	s_and_saveexec_b64 s[2:3], s[0:1]
	s_cbranch_execz .LBB11_8
; %bb.7:
	v_mov_b32_e32 v2, 0
	v_lshlrev_b64 v[6:7], 2, v[1:2]
	v_mov_b32_e32 v2, s9
	v_add_co_u32_e32 v6, vcc, s8, v6
	v_addc_co_u32_e32 v7, vcc, v2, v7, vcc
	global_load_dword v2, v[6:7], off
.LBB11_8:
	s_or_b64 exec, exec, s[2:3]
	s_waitcnt vmcnt(0)
	ds_write_b32 v3, v2 offset:256
	v_sub_u32_e64 v2, v0, 1 clamp
	v_lshlrev_b32_e32 v2, 2, v2
	s_waitcnt lgkmcnt(0)
	; wave barrier
	ds_read2_b32 v[6:7], v2 offset1:16
	ds_read_b32 v14, v3
	ds_read_b32 v15, v3 offset:256
	s_add_i32 s4, s7, -1
	v_add_u32_e32 v8, 1, v0
	v_min_i32_e32 v8, s4, v8
	s_waitcnt lgkmcnt(1)
	v_div_scale_f32 v10, s[2:3], v7, v7, v14
	v_div_scale_f32 v11, vcc, v14, v7, v14
	v_lshlrev_b32_e32 v12, 2, v8
	ds_read_b32 v16, v5
	ds_read_b32 v17, v4
	ds_read2_b32 v[8:9], v12 offset1:16
	s_waitcnt lgkmcnt(0)
	v_div_scale_f32 v18, s[2:3], v9, v9, v16
	v_rcp_f32_e32 v13, v10
	v_fma_f32 v19, -v10, v13, 1.0
	v_fmac_f32_e32 v13, v19, v13
	v_mul_f32_e32 v19, v11, v13
	v_fma_f32 v20, -v10, v19, v11
	v_fmac_f32_e32 v19, v20, v13
	v_div_scale_f32 v20, s[2:3], v16, v9, v16
	v_fma_f32 v10, -v10, v19, v11
	v_rcp_f32_e32 v11, v18
	v_div_fmas_f32 v19, v10, v13, v19
	s_mov_b64 vcc, s[2:3]
	v_fma_f32 v10, -v18, v11, 1.0
	v_fmac_f32_e32 v11, v10, v11
	v_mul_f32_e32 v10, v20, v11
	v_fma_f32 v13, -v18, v10, v20
	v_fmac_f32_e32 v10, v13, v11
	v_fma_f32 v13, -v18, v10, v20
	v_div_fmas_f32 v18, v13, v11, v10
	ds_read2_b32 v[10:11], v2 offset0:32 offset1:64
	ds_read2_b32 v[12:13], v12 offset0:32 offset1:64
	v_div_fixup_f32 v2, v19, v7, v14
	s_waitcnt lgkmcnt(0)
	; wave barrier
	v_div_fixup_f32 v7, v18, v9, v16
	v_fma_f32 v9, -v2, v10, v17
	v_fma_f32 v10, -v2, v11, v15
	v_mul_f32_e64 v2, v2, -v6
	v_fma_f32 v6, -v7, v8, v9
	v_fma_f32 v8, -v7, v13, v10
	v_mul_f32_e64 v7, v7, -v12
	ds_write_b32 v4, v6
	ds_write_b32 v3, v8 offset:256
	ds_write_b32 v3, v2
	ds_write_b32 v5, v7
	v_sub_u32_e64 v2, v0, 2 clamp
	v_lshlrev_b32_e32 v2, 2, v2
	s_waitcnt lgkmcnt(0)
	; wave barrier
	ds_read2_b32 v[6:7], v2 offset1:16
	ds_read_b32 v14, v3
	ds_read_b32 v15, v3 offset:256
	v_add_u32_e32 v8, 2, v0
	v_min_i32_e32 v8, s4, v8
	v_lshlrev_b32_e32 v12, 2, v8
	s_waitcnt lgkmcnt(1)
	v_div_scale_f32 v10, s[2:3], v7, v7, v14
	v_div_scale_f32 v11, vcc, v14, v7, v14
	ds_read_b32 v16, v5
	ds_read_b32 v17, v4
	ds_read2_b32 v[8:9], v12 offset1:16
	s_waitcnt lgkmcnt(0)
	v_div_scale_f32 v18, s[2:3], v9, v9, v16
	v_rcp_f32_e32 v13, v10
	v_fma_f32 v19, -v10, v13, 1.0
	v_fmac_f32_e32 v13, v19, v13
	v_mul_f32_e32 v19, v11, v13
	v_fma_f32 v20, -v10, v19, v11
	v_fmac_f32_e32 v19, v20, v13
	v_div_scale_f32 v20, s[2:3], v16, v9, v16
	v_fma_f32 v10, -v10, v19, v11
	v_rcp_f32_e32 v11, v18
	v_div_fmas_f32 v19, v10, v13, v19
	s_mov_b64 vcc, s[2:3]
	v_fma_f32 v10, -v18, v11, 1.0
	v_fmac_f32_e32 v11, v10, v11
	v_mul_f32_e32 v10, v20, v11
	v_fma_f32 v13, -v18, v10, v20
	v_fmac_f32_e32 v10, v13, v11
	v_fma_f32 v13, -v18, v10, v20
	v_div_fmas_f32 v18, v13, v11, v10
	ds_read2_b32 v[10:11], v2 offset0:32 offset1:64
	ds_read2_b32 v[12:13], v12 offset0:32 offset1:64
	v_div_fixup_f32 v2, v19, v7, v14
	s_waitcnt lgkmcnt(0)
	; wave barrier
	v_div_fixup_f32 v7, v18, v9, v16
	v_fma_f32 v9, -v2, v10, v17
	v_fma_f32 v8, -v7, v8, v9
	v_fma_f32 v9, -v2, v11, v15
	v_mul_f32_e64 v2, v2, -v6
	v_fma_f32 v9, -v7, v13, v9
	v_mul_f32_e64 v6, v7, -v12
	ds_write_b32 v4, v8
	ds_write_b32 v3, v9 offset:256
	ds_write_b32 v3, v2
	ds_write_b32 v5, v6
	v_sub_u32_e64 v2, v0, 4 clamp
	v_lshlrev_b32_e32 v2, 2, v2
	s_waitcnt lgkmcnt(0)
	; wave barrier
	ds_read2_b32 v[6:7], v2 offset1:16
	ds_read_b32 v12, v3
	ds_read_b32 v14, v3 offset:256
	v_add_u32_e32 v8, 4, v0
	v_min_i32_e32 v8, s4, v8
	v_lshlrev_b32_e32 v15, 2, v8
	s_waitcnt lgkmcnt(1)
	v_div_scale_f32 v10, s[2:3], v7, v7, v12
	v_div_scale_f32 v11, vcc, v12, v7, v12
	ds_read2_b32 v[8:9], v15 offset1:16
	ds_read_b32 v16, v5
	ds_read_b32 v17, v4
	s_waitcnt lgkmcnt(1)
	v_div_scale_f32 v19, s[2:3], v9, v9, v16
	v_rcp_f32_e32 v13, v10
	v_fma_f32 v18, -v10, v13, 1.0
	v_fmac_f32_e32 v13, v18, v13
	v_mul_f32_e32 v18, v11, v13
	v_fma_f32 v20, -v10, v18, v11
	v_fmac_f32_e32 v18, v20, v13
	v_div_scale_f32 v20, s[2:3], v16, v9, v16
	v_fma_f32 v10, -v10, v18, v11
	v_rcp_f32_e32 v11, v19
	v_div_fmas_f32 v13, v10, v13, v18
	s_mov_b64 vcc, s[2:3]
	v_fma_f32 v10, -v19, v11, 1.0
	v_fmac_f32_e32 v11, v10, v11
	v_mul_f32_e32 v10, v20, v11
	v_fma_f32 v18, -v19, v10, v20
	v_fmac_f32_e32 v10, v18, v11
	v_fma_f32 v18, -v19, v10, v20
	v_div_fmas_f32 v18, v18, v11, v10
	ds_read2_b32 v[10:11], v2 offset0:32 offset1:64
	v_div_fixup_f32 v2, v13, v7, v12
	ds_read2_b32 v[12:13], v15 offset0:32 offset1:64
	v_cmp_gt_u32_e32 vcc, 8, v0
	s_waitcnt lgkmcnt(0)
	; wave barrier
	v_div_fixup_f32 v7, v18, v9, v16
	v_fma_f32 v9, -v2, v10, v17
	v_fma_f32 v8, -v7, v8, v9
	;; [unrolled: 1-line block ×4, first 2 shown]
	v_mul_f32_e64 v2, v2, -v6
	v_mul_f32_e64 v6, v7, -v12
	ds_write_b32 v4, v8
	ds_write_b32 v3, v9 offset:256
	ds_write_b32 v3, v2
	ds_write_b32 v5, v6
	s_waitcnt lgkmcnt(0)
	; wave barrier
	s_and_saveexec_b64 s[2:3], vcc
	s_cbranch_execz .LBB11_14
; %bb.9:
	v_or_b32_e32 v2, 8, v0
	v_or_b32_e32 v6, 0x100, v3
	v_cmp_le_i32_e32 vcc, s7, v2
                                        ; implicit-def: $vgpr7
	s_and_saveexec_b64 s[4:5], vcc
	s_xor_b64 s[4:5], exec, s[4:5]
	s_cbranch_execz .LBB11_11
; %bb.10:
	ds_read_b32 v2, v6
	ds_read_b32 v4, v4
	s_waitcnt lgkmcnt(0)
	v_div_scale_f32 v5, s[6:7], v4, v4, v2
	v_div_scale_f32 v6, vcc, v2, v4, v2
	v_rcp_f32_e32 v7, v5
	v_fma_f32 v8, -v5, v7, 1.0
	v_fmac_f32_e32 v7, v8, v7
	v_mul_f32_e32 v8, v6, v7
	v_fma_f32 v9, -v5, v8, v6
	v_fmac_f32_e32 v8, v9, v7
	v_fma_f32 v5, -v5, v8, v6
	v_div_fmas_f32 v5, v5, v7, v8
                                        ; implicit-def: $vgpr6
	v_div_fixup_f32 v7, v5, v4, v2
                                        ; implicit-def: $vgpr4
                                        ; implicit-def: $vgpr5
                                        ; implicit-def: $vgpr2
.LBB11_11:
	s_andn2_saveexec_b64 s[4:5], s[4:5]
	s_cbranch_execz .LBB11_13
; %bb.12:
	ds_read_b32 v0, v5
	ds_read_b32 v8, v3 offset:32
	ds_read2_b32 v[4:5], v4 offset1:8
	s_waitcnt lgkmcnt(1)
	v_mul_f32_e32 v7, v0, v8
	s_waitcnt lgkmcnt(0)
	v_fma_f32 v9, v5, v4, -v7
	v_div_scale_f32 v7, s[6:7], v9, v9, 1.0
	v_div_scale_f32 v10, vcc, 1.0, v9, 1.0
	v_rcp_f32_e32 v11, v7
	v_fma_f32 v12, -v7, v11, 1.0
	v_fmac_f32_e32 v11, v12, v11
	v_mul_f32_e32 v12, v10, v11
	v_fma_f32 v13, -v7, v12, v10
	v_fmac_f32_e32 v12, v13, v11
	v_fma_f32 v7, -v7, v12, v10
	v_div_fmas_f32 v10, v7, v11, v12
	ds_read2_b32 v[6:7], v6 offset1:8
	s_waitcnt lgkmcnt(0)
	v_mul_f32_e32 v0, v0, v7
	v_mul_f32_e32 v8, v8, v6
	v_fma_f32 v0, v5, v6, -v0
	v_fma_f32 v4, v4, v7, -v8
	v_div_fixup_f32 v5, v10, v9, 1.0
	v_mul_f32_e32 v0, v5, v0
	v_mul_f32_e32 v7, v5, v4
	ds_write_b32 v3, v0 offset:192
	v_mov_b32_e32 v0, v2
.LBB11_13:
	s_or_b64 exec, exec, s[4:5]
	v_lshlrev_b32_e32 v0, 2, v0
	ds_write_b32 v0, v7 offset:192
.LBB11_14:
	s_or_b64 exec, exec, s[2:3]
	s_waitcnt lgkmcnt(0)
	; wave barrier
	s_and_saveexec_b64 s[2:3], s[0:1]
	s_cbranch_execz .LBB11_16
; %bb.15:
	v_mov_b32_e32 v2, 0
	ds_read_b32 v3, v3 offset:192
	v_lshlrev_b64 v[0:1], 2, v[1:2]
	v_mov_b32_e32 v2, s9
	v_add_co_u32_e32 v0, vcc, s8, v0
	v_addc_co_u32_e32 v1, vcc, v2, v1, vcc
	s_waitcnt lgkmcnt(0)
	global_store_dword v[0:1], v3, off
.LBB11_16:
	s_endpgm
	.section	.rodata,"a",@progbits
	.p2align	6, 0x0
	.amdhsa_kernel _ZN9rocsparseL30gtsv_nopivot_pcr_shared_kernelILj16EfEEviiiPKT0_S3_S3_PS1_
		.amdhsa_group_segment_fixed_size 320
		.amdhsa_private_segment_fixed_size 0
		.amdhsa_kernarg_size 48
		.amdhsa_user_sgpr_count 6
		.amdhsa_user_sgpr_private_segment_buffer 1
		.amdhsa_user_sgpr_dispatch_ptr 0
		.amdhsa_user_sgpr_queue_ptr 0
		.amdhsa_user_sgpr_kernarg_segment_ptr 1
		.amdhsa_user_sgpr_dispatch_id 0
		.amdhsa_user_sgpr_flat_scratch_init 0
		.amdhsa_user_sgpr_private_segment_size 0
		.amdhsa_uses_dynamic_stack 0
		.amdhsa_system_sgpr_private_segment_wavefront_offset 0
		.amdhsa_system_sgpr_workgroup_id_x 1
		.amdhsa_system_sgpr_workgroup_id_y 0
		.amdhsa_system_sgpr_workgroup_id_z 0
		.amdhsa_system_sgpr_workgroup_info 0
		.amdhsa_system_vgpr_workitem_id 0
		.amdhsa_next_free_vgpr 21
		.amdhsa_next_free_sgpr 12
		.amdhsa_reserve_vcc 1
		.amdhsa_reserve_flat_scratch 0
		.amdhsa_float_round_mode_32 0
		.amdhsa_float_round_mode_16_64 0
		.amdhsa_float_denorm_mode_32 3
		.amdhsa_float_denorm_mode_16_64 3
		.amdhsa_dx10_clamp 1
		.amdhsa_ieee_mode 1
		.amdhsa_fp16_overflow 0
		.amdhsa_exception_fp_ieee_invalid_op 0
		.amdhsa_exception_fp_denorm_src 0
		.amdhsa_exception_fp_ieee_div_zero 0
		.amdhsa_exception_fp_ieee_overflow 0
		.amdhsa_exception_fp_ieee_underflow 0
		.amdhsa_exception_fp_ieee_inexact 0
		.amdhsa_exception_int_div_zero 0
	.end_amdhsa_kernel
	.section	.text._ZN9rocsparseL30gtsv_nopivot_pcr_shared_kernelILj16EfEEviiiPKT0_S3_S3_PS1_,"axG",@progbits,_ZN9rocsparseL30gtsv_nopivot_pcr_shared_kernelILj16EfEEviiiPKT0_S3_S3_PS1_,comdat
.Lfunc_end11:
	.size	_ZN9rocsparseL30gtsv_nopivot_pcr_shared_kernelILj16EfEEviiiPKT0_S3_S3_PS1_, .Lfunc_end11-_ZN9rocsparseL30gtsv_nopivot_pcr_shared_kernelILj16EfEEviiiPKT0_S3_S3_PS1_
                                        ; -- End function
	.set _ZN9rocsparseL30gtsv_nopivot_pcr_shared_kernelILj16EfEEviiiPKT0_S3_S3_PS1_.num_vgpr, 21
	.set _ZN9rocsparseL30gtsv_nopivot_pcr_shared_kernelILj16EfEEviiiPKT0_S3_S3_PS1_.num_agpr, 0
	.set _ZN9rocsparseL30gtsv_nopivot_pcr_shared_kernelILj16EfEEviiiPKT0_S3_S3_PS1_.numbered_sgpr, 12
	.set _ZN9rocsparseL30gtsv_nopivot_pcr_shared_kernelILj16EfEEviiiPKT0_S3_S3_PS1_.num_named_barrier, 0
	.set _ZN9rocsparseL30gtsv_nopivot_pcr_shared_kernelILj16EfEEviiiPKT0_S3_S3_PS1_.private_seg_size, 0
	.set _ZN9rocsparseL30gtsv_nopivot_pcr_shared_kernelILj16EfEEviiiPKT0_S3_S3_PS1_.uses_vcc, 1
	.set _ZN9rocsparseL30gtsv_nopivot_pcr_shared_kernelILj16EfEEviiiPKT0_S3_S3_PS1_.uses_flat_scratch, 0
	.set _ZN9rocsparseL30gtsv_nopivot_pcr_shared_kernelILj16EfEEviiiPKT0_S3_S3_PS1_.has_dyn_sized_stack, 0
	.set _ZN9rocsparseL30gtsv_nopivot_pcr_shared_kernelILj16EfEEviiiPKT0_S3_S3_PS1_.has_recursion, 0
	.set _ZN9rocsparseL30gtsv_nopivot_pcr_shared_kernelILj16EfEEviiiPKT0_S3_S3_PS1_.has_indirect_call, 0
	.section	.AMDGPU.csdata,"",@progbits
; Kernel info:
; codeLenInByte = 1664
; TotalNumSgprs: 16
; NumVgprs: 21
; ScratchSize: 0
; MemoryBound: 0
; FloatMode: 240
; IeeeMode: 1
; LDSByteSize: 320 bytes/workgroup (compile time only)
; SGPRBlocks: 1
; VGPRBlocks: 5
; NumSGPRsForWavesPerEU: 16
; NumVGPRsForWavesPerEU: 21
; Occupancy: 10
; WaveLimiterHint : 0
; COMPUTE_PGM_RSRC2:SCRATCH_EN: 0
; COMPUTE_PGM_RSRC2:USER_SGPR: 6
; COMPUTE_PGM_RSRC2:TRAP_HANDLER: 0
; COMPUTE_PGM_RSRC2:TGID_X_EN: 1
; COMPUTE_PGM_RSRC2:TGID_Y_EN: 0
; COMPUTE_PGM_RSRC2:TGID_Z_EN: 0
; COMPUTE_PGM_RSRC2:TIDIG_COMP_CNT: 0
	.section	.text._ZN9rocsparseL30gtsv_nopivot_pcr_shared_kernelILj32EfEEviiiPKT0_S3_S3_PS1_,"axG",@progbits,_ZN9rocsparseL30gtsv_nopivot_pcr_shared_kernelILj32EfEEviiiPKT0_S3_S3_PS1_,comdat
	.globl	_ZN9rocsparseL30gtsv_nopivot_pcr_shared_kernelILj32EfEEviiiPKT0_S3_S3_PS1_ ; -- Begin function _ZN9rocsparseL30gtsv_nopivot_pcr_shared_kernelILj32EfEEviiiPKT0_S3_S3_PS1_
	.p2align	8
	.type	_ZN9rocsparseL30gtsv_nopivot_pcr_shared_kernelILj32EfEEviiiPKT0_S3_S3_PS1_,@function
_ZN9rocsparseL30gtsv_nopivot_pcr_shared_kernelILj32EfEEviiiPKT0_S3_S3_PS1_: ; @_ZN9rocsparseL30gtsv_nopivot_pcr_shared_kernelILj32EfEEviiiPKT0_S3_S3_PS1_
; %bb.0:
	s_load_dword s7, s[4:5], 0x0
	v_mov_b32_e32 v1, 0
	v_lshlrev_b32_e32 v3, 2, v0
	v_mov_b32_e32 v2, 0
	s_waitcnt lgkmcnt(0)
	v_cmp_gt_i32_e64 s[0:1], s7, v0
	s_and_saveexec_b64 s[2:3], s[0:1]
	s_cbranch_execz .LBB12_2
; %bb.1:
	s_load_dwordx2 s[8:9], s[4:5], 0x10
	s_waitcnt lgkmcnt(0)
	global_load_dword v2, v3, s[8:9]
.LBB12_2:
	s_or_b64 exec, exec, s[2:3]
	s_waitcnt vmcnt(0)
	ds_write_b32 v3, v2
	s_and_saveexec_b64 s[2:3], s[0:1]
	s_cbranch_execz .LBB12_4
; %bb.3:
	s_load_dwordx2 s[8:9], s[4:5], 0x18
	s_waitcnt lgkmcnt(0)
	global_load_dword v1, v3, s[8:9]
.LBB12_4:
	s_or_b64 exec, exec, s[2:3]
	s_load_dwordx2 s[8:9], s[4:5], 0x28
	s_waitcnt vmcnt(0)
	ds_write_b32 v3, v1 offset:128
	v_mov_b32_e32 v2, 0
	v_mov_b32_e32 v1, 0
	s_and_saveexec_b64 s[2:3], s[0:1]
	s_cbranch_execz .LBB12_6
; %bb.5:
	s_load_dwordx2 s[10:11], s[4:5], 0x20
	s_waitcnt lgkmcnt(0)
	global_load_dword v1, v3, s[10:11]
.LBB12_6:
	s_or_b64 exec, exec, s[2:3]
	s_load_dword s2, s[4:5], 0x8
	v_or_b32_e32 v4, 0x80, v3
	v_or_b32_e32 v5, 0x100, v3
	s_waitcnt vmcnt(0)
	ds_write_b32 v3, v1 offset:256
	s_waitcnt lgkmcnt(0)
	s_mul_i32 s2, s2, s6
	v_add_u32_e32 v1, s2, v0
	s_and_saveexec_b64 s[2:3], s[0:1]
	s_cbranch_execz .LBB12_8
; %bb.7:
	v_mov_b32_e32 v2, 0
	v_lshlrev_b64 v[6:7], 2, v[1:2]
	v_mov_b32_e32 v2, s9
	v_add_co_u32_e32 v6, vcc, s8, v6
	v_addc_co_u32_e32 v7, vcc, v2, v7, vcc
	global_load_dword v2, v[6:7], off
.LBB12_8:
	s_or_b64 exec, exec, s[2:3]
	s_waitcnt vmcnt(0)
	ds_write_b32 v3, v2 offset:512
	v_sub_u32_e64 v2, v0, 1 clamp
	v_lshlrev_b32_e32 v2, 2, v2
	s_waitcnt lgkmcnt(0)
	; wave barrier
	ds_read2_b32 v[6:7], v2 offset1:32
	ds_read_b32 v14, v3
	ds_read_b32 v15, v3 offset:512
	s_add_i32 s4, s7, -1
	v_add_u32_e32 v8, 1, v0
	v_min_i32_e32 v8, s4, v8
	s_waitcnt lgkmcnt(1)
	v_div_scale_f32 v10, s[2:3], v7, v7, v14
	v_div_scale_f32 v11, vcc, v14, v7, v14
	v_lshlrev_b32_e32 v12, 2, v8
	ds_read_b32 v16, v5
	ds_read_b32 v17, v4
	ds_read2_b32 v[8:9], v12 offset1:32
	s_waitcnt lgkmcnt(0)
	v_div_scale_f32 v18, s[2:3], v9, v9, v16
	v_rcp_f32_e32 v13, v10
	v_fma_f32 v19, -v10, v13, 1.0
	v_fmac_f32_e32 v13, v19, v13
	v_mul_f32_e32 v19, v11, v13
	v_fma_f32 v20, -v10, v19, v11
	v_fmac_f32_e32 v19, v20, v13
	v_div_scale_f32 v20, s[2:3], v16, v9, v16
	v_fma_f32 v10, -v10, v19, v11
	v_rcp_f32_e32 v11, v18
	v_div_fmas_f32 v19, v10, v13, v19
	s_mov_b64 vcc, s[2:3]
	v_fma_f32 v10, -v18, v11, 1.0
	v_fmac_f32_e32 v11, v10, v11
	v_mul_f32_e32 v10, v20, v11
	v_fma_f32 v13, -v18, v10, v20
	v_fmac_f32_e32 v10, v13, v11
	v_fma_f32 v13, -v18, v10, v20
	v_div_fmas_f32 v18, v13, v11, v10
	ds_read2st64_b32 v[10:11], v2 offset0:1 offset1:2
	ds_read2st64_b32 v[12:13], v12 offset0:1 offset1:2
	v_div_fixup_f32 v2, v19, v7, v14
	s_waitcnt lgkmcnt(0)
	; wave barrier
	v_div_fixup_f32 v7, v18, v9, v16
	v_fma_f32 v9, -v2, v10, v17
	v_fma_f32 v10, -v2, v11, v15
	v_mul_f32_e64 v2, v2, -v6
	v_fma_f32 v6, -v7, v8, v9
	v_fma_f32 v8, -v7, v13, v10
	v_mul_f32_e64 v7, v7, -v12
	ds_write_b32 v4, v6
	ds_write_b32 v3, v8 offset:512
	ds_write_b32 v3, v2
	ds_write_b32 v5, v7
	v_sub_u32_e64 v2, v0, 2 clamp
	v_lshlrev_b32_e32 v2, 2, v2
	s_waitcnt lgkmcnt(0)
	; wave barrier
	ds_read2_b32 v[6:7], v2 offset1:32
	ds_read_b32 v14, v3
	ds_read_b32 v15, v3 offset:512
	v_add_u32_e32 v8, 2, v0
	v_min_i32_e32 v8, s4, v8
	v_lshlrev_b32_e32 v12, 2, v8
	s_waitcnt lgkmcnt(1)
	v_div_scale_f32 v10, s[2:3], v7, v7, v14
	v_div_scale_f32 v11, vcc, v14, v7, v14
	ds_read_b32 v16, v5
	ds_read_b32 v17, v4
	ds_read2_b32 v[8:9], v12 offset1:32
	s_waitcnt lgkmcnt(0)
	v_div_scale_f32 v18, s[2:3], v9, v9, v16
	v_rcp_f32_e32 v13, v10
	v_fma_f32 v19, -v10, v13, 1.0
	v_fmac_f32_e32 v13, v19, v13
	v_mul_f32_e32 v19, v11, v13
	v_fma_f32 v20, -v10, v19, v11
	v_fmac_f32_e32 v19, v20, v13
	v_div_scale_f32 v20, s[2:3], v16, v9, v16
	v_fma_f32 v10, -v10, v19, v11
	v_rcp_f32_e32 v11, v18
	v_div_fmas_f32 v19, v10, v13, v19
	s_mov_b64 vcc, s[2:3]
	v_fma_f32 v10, -v18, v11, 1.0
	v_fmac_f32_e32 v11, v10, v11
	v_mul_f32_e32 v10, v20, v11
	v_fma_f32 v13, -v18, v10, v20
	v_fmac_f32_e32 v10, v13, v11
	v_fma_f32 v13, -v18, v10, v20
	v_div_fmas_f32 v18, v13, v11, v10
	ds_read2st64_b32 v[10:11], v2 offset0:1 offset1:2
	ds_read2st64_b32 v[12:13], v12 offset0:1 offset1:2
	v_div_fixup_f32 v2, v19, v7, v14
	s_waitcnt lgkmcnt(0)
	; wave barrier
	v_div_fixup_f32 v7, v18, v9, v16
	v_fma_f32 v9, -v2, v10, v17
	v_fma_f32 v8, -v7, v8, v9
	;; [unrolled: 1-line block ×3, first 2 shown]
	v_mul_f32_e64 v2, v2, -v6
	v_fma_f32 v9, -v7, v13, v9
	v_mul_f32_e64 v6, v7, -v12
	ds_write_b32 v4, v8
	ds_write_b32 v3, v9 offset:512
	ds_write_b32 v3, v2
	ds_write_b32 v5, v6
	v_sub_u32_e64 v2, v0, 4 clamp
	v_lshlrev_b32_e32 v2, 2, v2
	s_waitcnt lgkmcnt(0)
	; wave barrier
	ds_read2_b32 v[6:7], v2 offset1:32
	ds_read_b32 v12, v3
	ds_read_b32 v14, v3 offset:512
	v_add_u32_e32 v8, 4, v0
	v_min_i32_e32 v8, s4, v8
	v_lshlrev_b32_e32 v15, 2, v8
	s_waitcnt lgkmcnt(1)
	v_div_scale_f32 v10, s[2:3], v7, v7, v12
	v_div_scale_f32 v11, vcc, v12, v7, v12
	ds_read2_b32 v[8:9], v15 offset1:32
	ds_read_b32 v16, v5
	ds_read_b32 v17, v4
	s_waitcnt lgkmcnt(1)
	v_div_scale_f32 v19, s[2:3], v9, v9, v16
	v_rcp_f32_e32 v13, v10
	v_fma_f32 v18, -v10, v13, 1.0
	v_fmac_f32_e32 v13, v18, v13
	v_mul_f32_e32 v18, v11, v13
	v_fma_f32 v20, -v10, v18, v11
	v_fmac_f32_e32 v18, v20, v13
	v_div_scale_f32 v20, s[2:3], v16, v9, v16
	v_fma_f32 v10, -v10, v18, v11
	v_rcp_f32_e32 v11, v19
	v_div_fmas_f32 v13, v10, v13, v18
	s_mov_b64 vcc, s[2:3]
	v_fma_f32 v10, -v19, v11, 1.0
	v_fmac_f32_e32 v11, v10, v11
	v_mul_f32_e32 v10, v20, v11
	v_fma_f32 v18, -v19, v10, v20
	v_fmac_f32_e32 v10, v18, v11
	v_fma_f32 v18, -v19, v10, v20
	v_div_fmas_f32 v18, v18, v11, v10
	ds_read2st64_b32 v[10:11], v2 offset0:1 offset1:2
	v_div_fixup_f32 v2, v13, v7, v12
	ds_read2st64_b32 v[12:13], v15 offset0:1 offset1:2
	s_waitcnt lgkmcnt(0)
	; wave barrier
	v_div_fixup_f32 v7, v18, v9, v16
	v_fma_f32 v9, -v2, v10, v17
	v_fma_f32 v8, -v7, v8, v9
	;; [unrolled: 1-line block ×3, first 2 shown]
	v_mul_f32_e64 v2, v2, -v6
	v_fma_f32 v9, -v7, v13, v9
	v_mul_f32_e64 v6, v7, -v12
	ds_write_b32 v4, v8
	ds_write_b32 v3, v9 offset:512
	ds_write_b32 v3, v2
	ds_write_b32 v5, v6
	v_sub_u32_e64 v2, v0, 8 clamp
	v_lshlrev_b32_e32 v2, 2, v2
	s_waitcnt lgkmcnt(0)
	; wave barrier
	ds_read2_b32 v[6:7], v2 offset1:32
	ds_read_b32 v12, v3
	ds_read_b32 v14, v3 offset:512
	v_add_u32_e32 v8, 8, v0
	v_min_i32_e32 v8, s4, v8
	v_lshlrev_b32_e32 v15, 2, v8
	s_waitcnt lgkmcnt(1)
	v_div_scale_f32 v10, s[2:3], v7, v7, v12
	v_div_scale_f32 v11, vcc, v12, v7, v12
	ds_read2_b32 v[8:9], v15 offset1:32
	ds_read_b32 v16, v5
	ds_read_b32 v17, v4
	s_waitcnt lgkmcnt(1)
	v_div_scale_f32 v19, s[2:3], v9, v9, v16
	v_rcp_f32_e32 v13, v10
	v_fma_f32 v18, -v10, v13, 1.0
	v_fmac_f32_e32 v13, v18, v13
	v_mul_f32_e32 v18, v11, v13
	v_fma_f32 v20, -v10, v18, v11
	v_fmac_f32_e32 v18, v20, v13
	v_div_scale_f32 v20, s[2:3], v16, v9, v16
	v_fma_f32 v10, -v10, v18, v11
	v_rcp_f32_e32 v11, v19
	v_div_fmas_f32 v13, v10, v13, v18
	s_mov_b64 vcc, s[2:3]
	v_fma_f32 v10, -v19, v11, 1.0
	v_fmac_f32_e32 v11, v10, v11
	v_mul_f32_e32 v10, v20, v11
	v_fma_f32 v18, -v19, v10, v20
	v_fmac_f32_e32 v10, v18, v11
	v_fma_f32 v18, -v19, v10, v20
	v_div_fmas_f32 v18, v18, v11, v10
	ds_read2st64_b32 v[10:11], v2 offset0:1 offset1:2
	v_div_fixup_f32 v2, v13, v7, v12
	ds_read2st64_b32 v[12:13], v15 offset0:1 offset1:2
	v_cmp_gt_u32_e32 vcc, 16, v0
	s_waitcnt lgkmcnt(0)
	; wave barrier
	v_div_fixup_f32 v7, v18, v9, v16
	v_fma_f32 v9, -v2, v10, v17
	v_fma_f32 v8, -v7, v8, v9
	;; [unrolled: 1-line block ×4, first 2 shown]
	v_mul_f32_e64 v2, v2, -v6
	v_mul_f32_e64 v6, v7, -v12
	ds_write_b32 v4, v8
	ds_write_b32 v3, v9 offset:512
	ds_write_b32 v3, v2
	ds_write_b32 v5, v6
	s_waitcnt lgkmcnt(0)
	; wave barrier
	s_and_saveexec_b64 s[2:3], vcc
	s_cbranch_execz .LBB12_14
; %bb.9:
	v_or_b32_e32 v2, 16, v0
	v_or_b32_e32 v6, 0x200, v3
	v_cmp_le_i32_e32 vcc, s7, v2
                                        ; implicit-def: $vgpr7
	s_and_saveexec_b64 s[4:5], vcc
	s_xor_b64 s[4:5], exec, s[4:5]
	s_cbranch_execz .LBB12_11
; %bb.10:
	ds_read_b32 v2, v6
	ds_read_b32 v4, v4
	s_waitcnt lgkmcnt(0)
	v_div_scale_f32 v5, s[6:7], v4, v4, v2
	v_div_scale_f32 v6, vcc, v2, v4, v2
	v_rcp_f32_e32 v7, v5
	v_fma_f32 v8, -v5, v7, 1.0
	v_fmac_f32_e32 v7, v8, v7
	v_mul_f32_e32 v8, v6, v7
	v_fma_f32 v9, -v5, v8, v6
	v_fmac_f32_e32 v8, v9, v7
	v_fma_f32 v5, -v5, v8, v6
	v_div_fmas_f32 v5, v5, v7, v8
                                        ; implicit-def: $vgpr6
	v_div_fixup_f32 v7, v5, v4, v2
                                        ; implicit-def: $vgpr4
                                        ; implicit-def: $vgpr5
                                        ; implicit-def: $vgpr2
.LBB12_11:
	s_andn2_saveexec_b64 s[4:5], s[4:5]
	s_cbranch_execz .LBB12_13
; %bb.12:
	ds_read_b32 v0, v5
	ds_read_b32 v8, v3 offset:64
	ds_read2_b32 v[4:5], v4 offset1:16
	s_waitcnt lgkmcnt(1)
	v_mul_f32_e32 v7, v0, v8
	s_waitcnt lgkmcnt(0)
	v_fma_f32 v9, v5, v4, -v7
	v_div_scale_f32 v7, s[6:7], v9, v9, 1.0
	v_div_scale_f32 v10, vcc, 1.0, v9, 1.0
	v_rcp_f32_e32 v11, v7
	v_fma_f32 v12, -v7, v11, 1.0
	v_fmac_f32_e32 v11, v12, v11
	v_mul_f32_e32 v12, v10, v11
	v_fma_f32 v13, -v7, v12, v10
	v_fmac_f32_e32 v12, v13, v11
	v_fma_f32 v7, -v7, v12, v10
	v_div_fmas_f32 v10, v7, v11, v12
	ds_read2_b32 v[6:7], v6 offset1:16
	s_waitcnt lgkmcnt(0)
	v_mul_f32_e32 v0, v0, v7
	v_mul_f32_e32 v8, v8, v6
	v_fma_f32 v0, v5, v6, -v0
	v_fma_f32 v4, v4, v7, -v8
	v_div_fixup_f32 v5, v10, v9, 1.0
	v_mul_f32_e32 v0, v5, v0
	v_mul_f32_e32 v7, v5, v4
	ds_write_b32 v3, v0 offset:384
	v_mov_b32_e32 v0, v2
.LBB12_13:
	s_or_b64 exec, exec, s[4:5]
	v_lshlrev_b32_e32 v0, 2, v0
	ds_write_b32 v0, v7 offset:384
.LBB12_14:
	s_or_b64 exec, exec, s[2:3]
	s_waitcnt lgkmcnt(0)
	; wave barrier
	s_and_saveexec_b64 s[2:3], s[0:1]
	s_cbranch_execz .LBB12_16
; %bb.15:
	v_mov_b32_e32 v2, 0
	ds_read_b32 v3, v3 offset:384
	v_lshlrev_b64 v[0:1], 2, v[1:2]
	v_mov_b32_e32 v2, s9
	v_add_co_u32_e32 v0, vcc, s8, v0
	v_addc_co_u32_e32 v1, vcc, v2, v1, vcc
	s_waitcnt lgkmcnt(0)
	global_store_dword v[0:1], v3, off
.LBB12_16:
	s_endpgm
	.section	.rodata,"a",@progbits
	.p2align	6, 0x0
	.amdhsa_kernel _ZN9rocsparseL30gtsv_nopivot_pcr_shared_kernelILj32EfEEviiiPKT0_S3_S3_PS1_
		.amdhsa_group_segment_fixed_size 640
		.amdhsa_private_segment_fixed_size 0
		.amdhsa_kernarg_size 48
		.amdhsa_user_sgpr_count 6
		.amdhsa_user_sgpr_private_segment_buffer 1
		.amdhsa_user_sgpr_dispatch_ptr 0
		.amdhsa_user_sgpr_queue_ptr 0
		.amdhsa_user_sgpr_kernarg_segment_ptr 1
		.amdhsa_user_sgpr_dispatch_id 0
		.amdhsa_user_sgpr_flat_scratch_init 0
		.amdhsa_user_sgpr_private_segment_size 0
		.amdhsa_uses_dynamic_stack 0
		.amdhsa_system_sgpr_private_segment_wavefront_offset 0
		.amdhsa_system_sgpr_workgroup_id_x 1
		.amdhsa_system_sgpr_workgroup_id_y 0
		.amdhsa_system_sgpr_workgroup_id_z 0
		.amdhsa_system_sgpr_workgroup_info 0
		.amdhsa_system_vgpr_workitem_id 0
		.amdhsa_next_free_vgpr 21
		.amdhsa_next_free_sgpr 12
		.amdhsa_reserve_vcc 1
		.amdhsa_reserve_flat_scratch 0
		.amdhsa_float_round_mode_32 0
		.amdhsa_float_round_mode_16_64 0
		.amdhsa_float_denorm_mode_32 3
		.amdhsa_float_denorm_mode_16_64 3
		.amdhsa_dx10_clamp 1
		.amdhsa_ieee_mode 1
		.amdhsa_fp16_overflow 0
		.amdhsa_exception_fp_ieee_invalid_op 0
		.amdhsa_exception_fp_denorm_src 0
		.amdhsa_exception_fp_ieee_div_zero 0
		.amdhsa_exception_fp_ieee_overflow 0
		.amdhsa_exception_fp_ieee_underflow 0
		.amdhsa_exception_fp_ieee_inexact 0
		.amdhsa_exception_int_div_zero 0
	.end_amdhsa_kernel
	.section	.text._ZN9rocsparseL30gtsv_nopivot_pcr_shared_kernelILj32EfEEviiiPKT0_S3_S3_PS1_,"axG",@progbits,_ZN9rocsparseL30gtsv_nopivot_pcr_shared_kernelILj32EfEEviiiPKT0_S3_S3_PS1_,comdat
.Lfunc_end12:
	.size	_ZN9rocsparseL30gtsv_nopivot_pcr_shared_kernelILj32EfEEviiiPKT0_S3_S3_PS1_, .Lfunc_end12-_ZN9rocsparseL30gtsv_nopivot_pcr_shared_kernelILj32EfEEviiiPKT0_S3_S3_PS1_
                                        ; -- End function
	.set _ZN9rocsparseL30gtsv_nopivot_pcr_shared_kernelILj32EfEEviiiPKT0_S3_S3_PS1_.num_vgpr, 21
	.set _ZN9rocsparseL30gtsv_nopivot_pcr_shared_kernelILj32EfEEviiiPKT0_S3_S3_PS1_.num_agpr, 0
	.set _ZN9rocsparseL30gtsv_nopivot_pcr_shared_kernelILj32EfEEviiiPKT0_S3_S3_PS1_.numbered_sgpr, 12
	.set _ZN9rocsparseL30gtsv_nopivot_pcr_shared_kernelILj32EfEEviiiPKT0_S3_S3_PS1_.num_named_barrier, 0
	.set _ZN9rocsparseL30gtsv_nopivot_pcr_shared_kernelILj32EfEEviiiPKT0_S3_S3_PS1_.private_seg_size, 0
	.set _ZN9rocsparseL30gtsv_nopivot_pcr_shared_kernelILj32EfEEviiiPKT0_S3_S3_PS1_.uses_vcc, 1
	.set _ZN9rocsparseL30gtsv_nopivot_pcr_shared_kernelILj32EfEEviiiPKT0_S3_S3_PS1_.uses_flat_scratch, 0
	.set _ZN9rocsparseL30gtsv_nopivot_pcr_shared_kernelILj32EfEEviiiPKT0_S3_S3_PS1_.has_dyn_sized_stack, 0
	.set _ZN9rocsparseL30gtsv_nopivot_pcr_shared_kernelILj32EfEEviiiPKT0_S3_S3_PS1_.has_recursion, 0
	.set _ZN9rocsparseL30gtsv_nopivot_pcr_shared_kernelILj32EfEEviiiPKT0_S3_S3_PS1_.has_indirect_call, 0
	.section	.AMDGPU.csdata,"",@progbits
; Kernel info:
; codeLenInByte = 2000
; TotalNumSgprs: 16
; NumVgprs: 21
; ScratchSize: 0
; MemoryBound: 0
; FloatMode: 240
; IeeeMode: 1
; LDSByteSize: 640 bytes/workgroup (compile time only)
; SGPRBlocks: 1
; VGPRBlocks: 5
; NumSGPRsForWavesPerEU: 16
; NumVGPRsForWavesPerEU: 21
; Occupancy: 10
; WaveLimiterHint : 0
; COMPUTE_PGM_RSRC2:SCRATCH_EN: 0
; COMPUTE_PGM_RSRC2:USER_SGPR: 6
; COMPUTE_PGM_RSRC2:TRAP_HANDLER: 0
; COMPUTE_PGM_RSRC2:TGID_X_EN: 1
; COMPUTE_PGM_RSRC2:TGID_Y_EN: 0
; COMPUTE_PGM_RSRC2:TGID_Z_EN: 0
; COMPUTE_PGM_RSRC2:TIDIG_COMP_CNT: 0
	.section	.text._ZN9rocsparseL30gtsv_nopivot_pcr_shared_kernelILj64EfEEviiiPKT0_S3_S3_PS1_,"axG",@progbits,_ZN9rocsparseL30gtsv_nopivot_pcr_shared_kernelILj64EfEEviiiPKT0_S3_S3_PS1_,comdat
	.globl	_ZN9rocsparseL30gtsv_nopivot_pcr_shared_kernelILj64EfEEviiiPKT0_S3_S3_PS1_ ; -- Begin function _ZN9rocsparseL30gtsv_nopivot_pcr_shared_kernelILj64EfEEviiiPKT0_S3_S3_PS1_
	.p2align	8
	.type	_ZN9rocsparseL30gtsv_nopivot_pcr_shared_kernelILj64EfEEviiiPKT0_S3_S3_PS1_,@function
_ZN9rocsparseL30gtsv_nopivot_pcr_shared_kernelILj64EfEEviiiPKT0_S3_S3_PS1_: ; @_ZN9rocsparseL30gtsv_nopivot_pcr_shared_kernelILj64EfEEviiiPKT0_S3_S3_PS1_
; %bb.0:
	s_load_dword s7, s[4:5], 0x0
	v_mov_b32_e32 v1, 0
	v_lshlrev_b32_e32 v3, 2, v0
	v_mov_b32_e32 v2, 0
	s_waitcnt lgkmcnt(0)
	v_cmp_gt_i32_e64 s[0:1], s7, v0
	s_and_saveexec_b64 s[2:3], s[0:1]
	s_cbranch_execz .LBB13_2
; %bb.1:
	s_load_dwordx2 s[8:9], s[4:5], 0x10
	s_waitcnt lgkmcnt(0)
	global_load_dword v2, v3, s[8:9]
.LBB13_2:
	s_or_b64 exec, exec, s[2:3]
	s_waitcnt vmcnt(0)
	ds_write_b32 v3, v2
	s_and_saveexec_b64 s[2:3], s[0:1]
	s_cbranch_execz .LBB13_4
; %bb.3:
	s_load_dwordx2 s[8:9], s[4:5], 0x18
	s_waitcnt lgkmcnt(0)
	global_load_dword v1, v3, s[8:9]
.LBB13_4:
	s_or_b64 exec, exec, s[2:3]
	s_load_dwordx2 s[8:9], s[4:5], 0x28
	s_waitcnt vmcnt(0)
	ds_write_b32 v3, v1 offset:256
	v_mov_b32_e32 v2, 0
	v_mov_b32_e32 v1, 0
	s_and_saveexec_b64 s[2:3], s[0:1]
	s_cbranch_execz .LBB13_6
; %bb.5:
	s_load_dwordx2 s[10:11], s[4:5], 0x20
	s_waitcnt lgkmcnt(0)
	global_load_dword v1, v3, s[10:11]
.LBB13_6:
	s_or_b64 exec, exec, s[2:3]
	s_load_dword s2, s[4:5], 0x8
	v_or_b32_e32 v4, 0x100, v3
	v_or_b32_e32 v5, 0x200, v3
	s_waitcnt vmcnt(0)
	ds_write_b32 v3, v1 offset:512
	s_waitcnt lgkmcnt(0)
	s_mul_i32 s2, s2, s6
	v_add_u32_e32 v1, s2, v0
	s_and_saveexec_b64 s[2:3], s[0:1]
	s_cbranch_execz .LBB13_8
; %bb.7:
	v_mov_b32_e32 v2, 0
	v_lshlrev_b64 v[6:7], 2, v[1:2]
	v_mov_b32_e32 v2, s9
	v_add_co_u32_e32 v6, vcc, s8, v6
	v_addc_co_u32_e32 v7, vcc, v2, v7, vcc
	global_load_dword v2, v[6:7], off
.LBB13_8:
	s_or_b64 exec, exec, s[2:3]
	s_waitcnt vmcnt(0)
	ds_write_b32 v3, v2 offset:1024
	v_sub_u32_e64 v2, v0, 1 clamp
	v_lshlrev_b32_e32 v2, 2, v2
	s_waitcnt lgkmcnt(0)
	; wave barrier
	ds_read2st64_b32 v[6:7], v2 offset1:1
	ds_read_b32 v14, v3
	ds_read_b32 v15, v3 offset:1024
	s_add_i32 s4, s7, -1
	v_add_u32_e32 v8, 1, v0
	v_min_i32_e32 v8, s4, v8
	s_waitcnt lgkmcnt(1)
	v_div_scale_f32 v10, s[2:3], v7, v7, v14
	v_div_scale_f32 v11, vcc, v14, v7, v14
	v_lshlrev_b32_e32 v12, 2, v8
	ds_read_b32 v16, v5
	ds_read_b32 v17, v4
	ds_read2st64_b32 v[8:9], v12 offset1:1
	s_waitcnt lgkmcnt(0)
	v_div_scale_f32 v18, s[2:3], v9, v9, v16
	v_rcp_f32_e32 v13, v10
	v_fma_f32 v19, -v10, v13, 1.0
	v_fmac_f32_e32 v13, v19, v13
	v_mul_f32_e32 v19, v11, v13
	v_fma_f32 v20, -v10, v19, v11
	v_fmac_f32_e32 v19, v20, v13
	v_div_scale_f32 v20, s[2:3], v16, v9, v16
	v_fma_f32 v10, -v10, v19, v11
	v_rcp_f32_e32 v11, v18
	v_div_fmas_f32 v19, v10, v13, v19
	s_mov_b64 vcc, s[2:3]
	v_fma_f32 v10, -v18, v11, 1.0
	v_fmac_f32_e32 v11, v10, v11
	v_mul_f32_e32 v10, v20, v11
	v_fma_f32 v13, -v18, v10, v20
	v_fmac_f32_e32 v10, v13, v11
	v_fma_f32 v13, -v18, v10, v20
	v_div_fmas_f32 v18, v13, v11, v10
	ds_read2st64_b32 v[10:11], v2 offset0:2 offset1:4
	ds_read2st64_b32 v[12:13], v12 offset0:2 offset1:4
	v_div_fixup_f32 v2, v19, v7, v14
	s_waitcnt lgkmcnt(0)
	; wave barrier
	v_div_fixup_f32 v7, v18, v9, v16
	v_fma_f32 v9, -v2, v10, v17
	v_fma_f32 v10, -v2, v11, v15
	v_mul_f32_e64 v2, v2, -v6
	v_fma_f32 v6, -v7, v8, v9
	v_fma_f32 v8, -v7, v13, v10
	v_mul_f32_e64 v7, v7, -v12
	ds_write_b32 v4, v6
	ds_write_b32 v3, v8 offset:1024
	ds_write_b32 v3, v2
	ds_write_b32 v5, v7
	v_sub_u32_e64 v2, v0, 2 clamp
	v_lshlrev_b32_e32 v2, 2, v2
	s_waitcnt lgkmcnt(0)
	; wave barrier
	ds_read2st64_b32 v[6:7], v2 offset1:1
	ds_read_b32 v14, v3
	ds_read_b32 v15, v3 offset:1024
	v_add_u32_e32 v8, 2, v0
	v_min_i32_e32 v8, s4, v8
	v_lshlrev_b32_e32 v12, 2, v8
	s_waitcnt lgkmcnt(1)
	v_div_scale_f32 v10, s[2:3], v7, v7, v14
	v_div_scale_f32 v11, vcc, v14, v7, v14
	ds_read_b32 v16, v5
	ds_read_b32 v17, v4
	ds_read2st64_b32 v[8:9], v12 offset1:1
	s_waitcnt lgkmcnt(0)
	v_div_scale_f32 v18, s[2:3], v9, v9, v16
	v_rcp_f32_e32 v13, v10
	v_fma_f32 v19, -v10, v13, 1.0
	v_fmac_f32_e32 v13, v19, v13
	v_mul_f32_e32 v19, v11, v13
	v_fma_f32 v20, -v10, v19, v11
	v_fmac_f32_e32 v19, v20, v13
	v_div_scale_f32 v20, s[2:3], v16, v9, v16
	v_fma_f32 v10, -v10, v19, v11
	v_rcp_f32_e32 v11, v18
	v_div_fmas_f32 v19, v10, v13, v19
	s_mov_b64 vcc, s[2:3]
	v_fma_f32 v10, -v18, v11, 1.0
	v_fmac_f32_e32 v11, v10, v11
	v_mul_f32_e32 v10, v20, v11
	v_fma_f32 v13, -v18, v10, v20
	v_fmac_f32_e32 v10, v13, v11
	v_fma_f32 v13, -v18, v10, v20
	v_div_fmas_f32 v18, v13, v11, v10
	ds_read2st64_b32 v[10:11], v2 offset0:2 offset1:4
	ds_read2st64_b32 v[12:13], v12 offset0:2 offset1:4
	v_div_fixup_f32 v2, v19, v7, v14
	s_waitcnt lgkmcnt(0)
	; wave barrier
	v_div_fixup_f32 v7, v18, v9, v16
	v_fma_f32 v9, -v2, v10, v17
	v_fma_f32 v8, -v7, v8, v9
	v_fma_f32 v9, -v2, v11, v15
	v_mul_f32_e64 v2, v2, -v6
	v_fma_f32 v9, -v7, v13, v9
	v_mul_f32_e64 v6, v7, -v12
	ds_write_b32 v4, v8
	ds_write_b32 v3, v9 offset:1024
	ds_write_b32 v3, v2
	ds_write_b32 v5, v6
	v_sub_u32_e64 v2, v0, 4 clamp
	v_lshlrev_b32_e32 v2, 2, v2
	s_waitcnt lgkmcnt(0)
	; wave barrier
	ds_read2st64_b32 v[6:7], v2 offset1:1
	ds_read_b32 v12, v3
	ds_read_b32 v14, v3 offset:1024
	v_add_u32_e32 v8, 4, v0
	v_min_i32_e32 v8, s4, v8
	v_lshlrev_b32_e32 v15, 2, v8
	s_waitcnt lgkmcnt(1)
	v_div_scale_f32 v10, s[2:3], v7, v7, v12
	v_div_scale_f32 v11, vcc, v12, v7, v12
	ds_read2st64_b32 v[8:9], v15 offset1:1
	ds_read_b32 v16, v5
	ds_read_b32 v17, v4
	s_waitcnt lgkmcnt(1)
	v_div_scale_f32 v19, s[2:3], v9, v9, v16
	v_rcp_f32_e32 v13, v10
	v_fma_f32 v18, -v10, v13, 1.0
	v_fmac_f32_e32 v13, v18, v13
	v_mul_f32_e32 v18, v11, v13
	v_fma_f32 v20, -v10, v18, v11
	v_fmac_f32_e32 v18, v20, v13
	v_div_scale_f32 v20, s[2:3], v16, v9, v16
	v_fma_f32 v10, -v10, v18, v11
	v_rcp_f32_e32 v11, v19
	v_div_fmas_f32 v13, v10, v13, v18
	s_mov_b64 vcc, s[2:3]
	v_fma_f32 v10, -v19, v11, 1.0
	v_fmac_f32_e32 v11, v10, v11
	v_mul_f32_e32 v10, v20, v11
	v_fma_f32 v18, -v19, v10, v20
	v_fmac_f32_e32 v10, v18, v11
	v_fma_f32 v18, -v19, v10, v20
	v_div_fmas_f32 v18, v18, v11, v10
	ds_read2st64_b32 v[10:11], v2 offset0:2 offset1:4
	v_div_fixup_f32 v2, v13, v7, v12
	ds_read2st64_b32 v[12:13], v15 offset0:2 offset1:4
	s_waitcnt lgkmcnt(0)
	; wave barrier
	v_div_fixup_f32 v7, v18, v9, v16
	v_fma_f32 v9, -v2, v10, v17
	v_fma_f32 v8, -v7, v8, v9
	v_fma_f32 v9, -v2, v11, v14
	v_mul_f32_e64 v2, v2, -v6
	v_fma_f32 v9, -v7, v13, v9
	v_mul_f32_e64 v6, v7, -v12
	ds_write_b32 v4, v8
	ds_write_b32 v3, v9 offset:1024
	ds_write_b32 v3, v2
	ds_write_b32 v5, v6
	v_sub_u32_e64 v2, v0, 8 clamp
	v_lshlrev_b32_e32 v2, 2, v2
	s_waitcnt lgkmcnt(0)
	; wave barrier
	ds_read2st64_b32 v[6:7], v2 offset1:1
	ds_read_b32 v12, v3
	ds_read_b32 v14, v3 offset:1024
	v_add_u32_e32 v8, 8, v0
	v_min_i32_e32 v8, s4, v8
	v_lshlrev_b32_e32 v15, 2, v8
	s_waitcnt lgkmcnt(1)
	v_div_scale_f32 v10, s[2:3], v7, v7, v12
	v_div_scale_f32 v11, vcc, v12, v7, v12
	ds_read2st64_b32 v[8:9], v15 offset1:1
	ds_read_b32 v16, v5
	ds_read_b32 v17, v4
	s_waitcnt lgkmcnt(1)
	v_div_scale_f32 v19, s[2:3], v9, v9, v16
	v_rcp_f32_e32 v13, v10
	v_fma_f32 v18, -v10, v13, 1.0
	v_fmac_f32_e32 v13, v18, v13
	v_mul_f32_e32 v18, v11, v13
	v_fma_f32 v20, -v10, v18, v11
	v_fmac_f32_e32 v18, v20, v13
	v_div_scale_f32 v20, s[2:3], v16, v9, v16
	v_fma_f32 v10, -v10, v18, v11
	v_rcp_f32_e32 v11, v19
	v_div_fmas_f32 v13, v10, v13, v18
	s_mov_b64 vcc, s[2:3]
	v_fma_f32 v10, -v19, v11, 1.0
	v_fmac_f32_e32 v11, v10, v11
	v_mul_f32_e32 v10, v20, v11
	v_fma_f32 v18, -v19, v10, v20
	v_fmac_f32_e32 v10, v18, v11
	v_fma_f32 v18, -v19, v10, v20
	v_div_fmas_f32 v18, v18, v11, v10
	ds_read2st64_b32 v[10:11], v2 offset0:2 offset1:4
	v_div_fixup_f32 v2, v13, v7, v12
	ds_read2st64_b32 v[12:13], v15 offset0:2 offset1:4
	;; [unrolled: 52-line block ×3, first 2 shown]
	v_cmp_gt_u32_e32 vcc, 32, v0
	s_waitcnt lgkmcnt(0)
	; wave barrier
	v_div_fixup_f32 v7, v18, v9, v16
	v_fma_f32 v9, -v2, v10, v17
	v_fma_f32 v8, -v7, v8, v9
	;; [unrolled: 1-line block ×4, first 2 shown]
	v_mul_f32_e64 v2, v2, -v6
	v_mul_f32_e64 v6, v7, -v12
	ds_write_b32 v4, v8
	ds_write_b32 v3, v9 offset:1024
	ds_write_b32 v3, v2
	ds_write_b32 v5, v6
	s_waitcnt lgkmcnt(0)
	; wave barrier
	s_and_saveexec_b64 s[2:3], vcc
	s_cbranch_execz .LBB13_14
; %bb.9:
	v_or_b32_e32 v2, 32, v0
	v_or_b32_e32 v6, 0x400, v3
	v_cmp_le_i32_e32 vcc, s7, v2
                                        ; implicit-def: $vgpr7
	s_and_saveexec_b64 s[4:5], vcc
	s_xor_b64 s[4:5], exec, s[4:5]
	s_cbranch_execz .LBB13_11
; %bb.10:
	ds_read_b32 v2, v6
	ds_read_b32 v4, v4
	s_waitcnt lgkmcnt(0)
	v_div_scale_f32 v5, s[6:7], v4, v4, v2
	v_div_scale_f32 v6, vcc, v2, v4, v2
	v_rcp_f32_e32 v7, v5
	v_fma_f32 v8, -v5, v7, 1.0
	v_fmac_f32_e32 v7, v8, v7
	v_mul_f32_e32 v8, v6, v7
	v_fma_f32 v9, -v5, v8, v6
	v_fmac_f32_e32 v8, v9, v7
	v_fma_f32 v5, -v5, v8, v6
	v_div_fmas_f32 v5, v5, v7, v8
                                        ; implicit-def: $vgpr6
	v_div_fixup_f32 v7, v5, v4, v2
                                        ; implicit-def: $vgpr4
                                        ; implicit-def: $vgpr5
                                        ; implicit-def: $vgpr2
.LBB13_11:
	s_andn2_saveexec_b64 s[4:5], s[4:5]
	s_cbranch_execz .LBB13_13
; %bb.12:
	ds_read_b32 v0, v5
	ds_read_b32 v8, v3 offset:128
	ds_read2_b32 v[4:5], v4 offset1:32
	s_waitcnt lgkmcnt(1)
	v_mul_f32_e32 v7, v0, v8
	s_waitcnt lgkmcnt(0)
	v_fma_f32 v9, v5, v4, -v7
	v_div_scale_f32 v7, s[6:7], v9, v9, 1.0
	v_div_scale_f32 v10, vcc, 1.0, v9, 1.0
	v_rcp_f32_e32 v11, v7
	v_fma_f32 v12, -v7, v11, 1.0
	v_fmac_f32_e32 v11, v12, v11
	v_mul_f32_e32 v12, v10, v11
	v_fma_f32 v13, -v7, v12, v10
	v_fmac_f32_e32 v12, v13, v11
	v_fma_f32 v7, -v7, v12, v10
	v_div_fmas_f32 v10, v7, v11, v12
	ds_read2_b32 v[6:7], v6 offset1:32
	s_waitcnt lgkmcnt(0)
	v_mul_f32_e32 v0, v0, v7
	v_mul_f32_e32 v8, v8, v6
	v_fma_f32 v0, v5, v6, -v0
	v_fma_f32 v4, v4, v7, -v8
	v_div_fixup_f32 v5, v10, v9, 1.0
	v_mul_f32_e32 v0, v5, v0
	v_mul_f32_e32 v7, v5, v4
	ds_write_b32 v3, v0 offset:768
	v_mov_b32_e32 v0, v2
.LBB13_13:
	s_or_b64 exec, exec, s[4:5]
	v_lshlrev_b32_e32 v0, 2, v0
	ds_write_b32 v0, v7 offset:768
.LBB13_14:
	s_or_b64 exec, exec, s[2:3]
	s_waitcnt lgkmcnt(0)
	; wave barrier
	s_and_saveexec_b64 s[2:3], s[0:1]
	s_cbranch_execz .LBB13_16
; %bb.15:
	v_mov_b32_e32 v2, 0
	ds_read_b32 v3, v3 offset:768
	v_lshlrev_b64 v[0:1], 2, v[1:2]
	v_mov_b32_e32 v2, s9
	v_add_co_u32_e32 v0, vcc, s8, v0
	v_addc_co_u32_e32 v1, vcc, v2, v1, vcc
	s_waitcnt lgkmcnt(0)
	global_store_dword v[0:1], v3, off
.LBB13_16:
	s_endpgm
	.section	.rodata,"a",@progbits
	.p2align	6, 0x0
	.amdhsa_kernel _ZN9rocsparseL30gtsv_nopivot_pcr_shared_kernelILj64EfEEviiiPKT0_S3_S3_PS1_
		.amdhsa_group_segment_fixed_size 1280
		.amdhsa_private_segment_fixed_size 0
		.amdhsa_kernarg_size 48
		.amdhsa_user_sgpr_count 6
		.amdhsa_user_sgpr_private_segment_buffer 1
		.amdhsa_user_sgpr_dispatch_ptr 0
		.amdhsa_user_sgpr_queue_ptr 0
		.amdhsa_user_sgpr_kernarg_segment_ptr 1
		.amdhsa_user_sgpr_dispatch_id 0
		.amdhsa_user_sgpr_flat_scratch_init 0
		.amdhsa_user_sgpr_private_segment_size 0
		.amdhsa_uses_dynamic_stack 0
		.amdhsa_system_sgpr_private_segment_wavefront_offset 0
		.amdhsa_system_sgpr_workgroup_id_x 1
		.amdhsa_system_sgpr_workgroup_id_y 0
		.amdhsa_system_sgpr_workgroup_id_z 0
		.amdhsa_system_sgpr_workgroup_info 0
		.amdhsa_system_vgpr_workitem_id 0
		.amdhsa_next_free_vgpr 21
		.amdhsa_next_free_sgpr 12
		.amdhsa_reserve_vcc 1
		.amdhsa_reserve_flat_scratch 0
		.amdhsa_float_round_mode_32 0
		.amdhsa_float_round_mode_16_64 0
		.amdhsa_float_denorm_mode_32 3
		.amdhsa_float_denorm_mode_16_64 3
		.amdhsa_dx10_clamp 1
		.amdhsa_ieee_mode 1
		.amdhsa_fp16_overflow 0
		.amdhsa_exception_fp_ieee_invalid_op 0
		.amdhsa_exception_fp_denorm_src 0
		.amdhsa_exception_fp_ieee_div_zero 0
		.amdhsa_exception_fp_ieee_overflow 0
		.amdhsa_exception_fp_ieee_underflow 0
		.amdhsa_exception_fp_ieee_inexact 0
		.amdhsa_exception_int_div_zero 0
	.end_amdhsa_kernel
	.section	.text._ZN9rocsparseL30gtsv_nopivot_pcr_shared_kernelILj64EfEEviiiPKT0_S3_S3_PS1_,"axG",@progbits,_ZN9rocsparseL30gtsv_nopivot_pcr_shared_kernelILj64EfEEviiiPKT0_S3_S3_PS1_,comdat
.Lfunc_end13:
	.size	_ZN9rocsparseL30gtsv_nopivot_pcr_shared_kernelILj64EfEEviiiPKT0_S3_S3_PS1_, .Lfunc_end13-_ZN9rocsparseL30gtsv_nopivot_pcr_shared_kernelILj64EfEEviiiPKT0_S3_S3_PS1_
                                        ; -- End function
	.set _ZN9rocsparseL30gtsv_nopivot_pcr_shared_kernelILj64EfEEviiiPKT0_S3_S3_PS1_.num_vgpr, 21
	.set _ZN9rocsparseL30gtsv_nopivot_pcr_shared_kernelILj64EfEEviiiPKT0_S3_S3_PS1_.num_agpr, 0
	.set _ZN9rocsparseL30gtsv_nopivot_pcr_shared_kernelILj64EfEEviiiPKT0_S3_S3_PS1_.numbered_sgpr, 12
	.set _ZN9rocsparseL30gtsv_nopivot_pcr_shared_kernelILj64EfEEviiiPKT0_S3_S3_PS1_.num_named_barrier, 0
	.set _ZN9rocsparseL30gtsv_nopivot_pcr_shared_kernelILj64EfEEviiiPKT0_S3_S3_PS1_.private_seg_size, 0
	.set _ZN9rocsparseL30gtsv_nopivot_pcr_shared_kernelILj64EfEEviiiPKT0_S3_S3_PS1_.uses_vcc, 1
	.set _ZN9rocsparseL30gtsv_nopivot_pcr_shared_kernelILj64EfEEviiiPKT0_S3_S3_PS1_.uses_flat_scratch, 0
	.set _ZN9rocsparseL30gtsv_nopivot_pcr_shared_kernelILj64EfEEviiiPKT0_S3_S3_PS1_.has_dyn_sized_stack, 0
	.set _ZN9rocsparseL30gtsv_nopivot_pcr_shared_kernelILj64EfEEviiiPKT0_S3_S3_PS1_.has_recursion, 0
	.set _ZN9rocsparseL30gtsv_nopivot_pcr_shared_kernelILj64EfEEviiiPKT0_S3_S3_PS1_.has_indirect_call, 0
	.section	.AMDGPU.csdata,"",@progbits
; Kernel info:
; codeLenInByte = 2332
; TotalNumSgprs: 16
; NumVgprs: 21
; ScratchSize: 0
; MemoryBound: 0
; FloatMode: 240
; IeeeMode: 1
; LDSByteSize: 1280 bytes/workgroup (compile time only)
; SGPRBlocks: 1
; VGPRBlocks: 5
; NumSGPRsForWavesPerEU: 16
; NumVGPRsForWavesPerEU: 21
; Occupancy: 10
; WaveLimiterHint : 0
; COMPUTE_PGM_RSRC2:SCRATCH_EN: 0
; COMPUTE_PGM_RSRC2:USER_SGPR: 6
; COMPUTE_PGM_RSRC2:TRAP_HANDLER: 0
; COMPUTE_PGM_RSRC2:TGID_X_EN: 1
; COMPUTE_PGM_RSRC2:TGID_Y_EN: 0
; COMPUTE_PGM_RSRC2:TGID_Z_EN: 0
; COMPUTE_PGM_RSRC2:TIDIG_COMP_CNT: 0
	.section	.text._ZN9rocsparseL30gtsv_nopivot_pcr_shared_kernelILj128EfEEviiiPKT0_S3_S3_PS1_,"axG",@progbits,_ZN9rocsparseL30gtsv_nopivot_pcr_shared_kernelILj128EfEEviiiPKT0_S3_S3_PS1_,comdat
	.globl	_ZN9rocsparseL30gtsv_nopivot_pcr_shared_kernelILj128EfEEviiiPKT0_S3_S3_PS1_ ; -- Begin function _ZN9rocsparseL30gtsv_nopivot_pcr_shared_kernelILj128EfEEviiiPKT0_S3_S3_PS1_
	.p2align	8
	.type	_ZN9rocsparseL30gtsv_nopivot_pcr_shared_kernelILj128EfEEviiiPKT0_S3_S3_PS1_,@function
_ZN9rocsparseL30gtsv_nopivot_pcr_shared_kernelILj128EfEEviiiPKT0_S3_S3_PS1_: ; @_ZN9rocsparseL30gtsv_nopivot_pcr_shared_kernelILj128EfEEviiiPKT0_S3_S3_PS1_
; %bb.0:
	s_load_dword s7, s[4:5], 0x0
	v_mov_b32_e32 v1, 0
	v_lshlrev_b32_e32 v3, 2, v0
	v_mov_b32_e32 v2, 0
	s_waitcnt lgkmcnt(0)
	v_cmp_gt_i32_e64 s[0:1], s7, v0
	s_and_saveexec_b64 s[2:3], s[0:1]
	s_cbranch_execz .LBB14_2
; %bb.1:
	s_load_dwordx2 s[8:9], s[4:5], 0x10
	s_waitcnt lgkmcnt(0)
	global_load_dword v2, v3, s[8:9]
.LBB14_2:
	s_or_b64 exec, exec, s[2:3]
	s_waitcnt vmcnt(0)
	ds_write_b32 v3, v2
	s_and_saveexec_b64 s[2:3], s[0:1]
	s_cbranch_execz .LBB14_4
; %bb.3:
	s_load_dwordx2 s[8:9], s[4:5], 0x18
	s_waitcnt lgkmcnt(0)
	global_load_dword v1, v3, s[8:9]
.LBB14_4:
	s_or_b64 exec, exec, s[2:3]
	s_load_dwordx2 s[8:9], s[4:5], 0x28
	s_waitcnt vmcnt(0)
	ds_write_b32 v3, v1 offset:512
	v_mov_b32_e32 v2, 0
	v_mov_b32_e32 v1, 0
	s_and_saveexec_b64 s[2:3], s[0:1]
	s_cbranch_execz .LBB14_6
; %bb.5:
	s_load_dwordx2 s[10:11], s[4:5], 0x20
	s_waitcnt lgkmcnt(0)
	global_load_dword v1, v3, s[10:11]
.LBB14_6:
	s_or_b64 exec, exec, s[2:3]
	s_load_dword s2, s[4:5], 0x8
	v_or_b32_e32 v4, 0x200, v3
	v_or_b32_e32 v5, 0x400, v3
	s_waitcnt vmcnt(0)
	ds_write_b32 v3, v1 offset:1024
	s_waitcnt lgkmcnt(0)
	s_mul_i32 s2, s2, s6
	v_add_u32_e32 v1, s2, v0
	s_and_saveexec_b64 s[2:3], s[0:1]
	s_cbranch_execz .LBB14_8
; %bb.7:
	v_mov_b32_e32 v2, 0
	v_lshlrev_b64 v[6:7], 2, v[1:2]
	v_mov_b32_e32 v2, s9
	v_add_co_u32_e32 v6, vcc, s8, v6
	v_addc_co_u32_e32 v7, vcc, v2, v7, vcc
	global_load_dword v2, v[6:7], off
.LBB14_8:
	s_or_b64 exec, exec, s[2:3]
	v_sub_u32_e64 v6, v0, 1 clamp
	v_lshlrev_b32_e32 v10, 2, v6
	s_waitcnt vmcnt(0)
	ds_write_b32 v3, v2 offset:2048
	s_waitcnt lgkmcnt(0)
	s_barrier
	ds_read_b32 v14, v3
	ds_read2st64_b32 v[6:7], v10 offset1:2
	s_add_i32 s4, s7, -1
	v_add_u32_e32 v2, 1, v0
	v_min_i32_e32 v2, s4, v2
	v_lshlrev_b32_e32 v2, 2, v2
	s_waitcnt lgkmcnt(0)
	v_div_scale_f32 v11, s[2:3], v7, v7, v14
	ds_read2st64_b32 v[8:9], v2 offset1:2
	ds_read_b32 v15, v5
	ds_read_b32 v16, v3 offset:2048
	v_div_scale_f32 v13, vcc, v14, v7, v14
	ds_read_b32 v17, v4
	s_waitcnt lgkmcnt(2)
	v_div_scale_f32 v12, s[2:3], v9, v9, v15
	v_div_scale_f32 v18, s[2:3], v15, v9, v15
	v_rcp_f32_e32 v19, v11
	v_fma_f32 v21, -v11, v19, 1.0
	v_fmac_f32_e32 v19, v21, v19
	v_rcp_f32_e32 v20, v12
	v_mul_f32_e32 v21, v13, v19
	v_fma_f32 v22, -v11, v21, v13
	v_fmac_f32_e32 v21, v22, v19
	v_fma_f32 v11, -v11, v21, v13
	v_div_fmas_f32 v19, v11, v19, v21
	v_fma_f32 v11, -v12, v20, 1.0
	v_fmac_f32_e32 v20, v11, v20
	v_mul_f32_e32 v11, v18, v20
	v_fma_f32 v13, -v12, v11, v18
	v_fmac_f32_e32 v11, v13, v20
	v_fma_f32 v12, -v12, v11, v18
	s_mov_b64 vcc, s[2:3]
	v_div_fmas_f32 v18, v12, v20, v11
	ds_read2st64_b32 v[10:11], v10 offset0:4 offset1:8
	ds_read2st64_b32 v[12:13], v2 offset0:4 offset1:8
	s_waitcnt lgkmcnt(0)
	s_barrier
	v_div_fixup_f32 v2, v19, v7, v14
	v_div_fixup_f32 v7, v18, v9, v15
	v_fma_f32 v9, -v2, v10, v17
	v_fma_f32 v10, -v2, v11, v16
	v_mul_f32_e64 v2, v2, -v6
	v_fma_f32 v6, -v7, v8, v9
	v_fma_f32 v8, -v7, v13, v10
	v_mul_f32_e64 v7, v7, -v12
	ds_write_b32 v4, v6
	ds_write_b32 v3, v8 offset:2048
	ds_write_b32 v3, v2
	ds_write_b32 v5, v7
	v_sub_u32_e64 v2, v0, 2 clamp
	v_lshlrev_b32_e32 v2, 2, v2
	s_waitcnt lgkmcnt(0)
	s_barrier
	ds_read_b32 v12, v3
	ds_read_b32 v14, v3 offset:2048
	ds_read_b32 v15, v5
	ds_read_b32 v16, v4
	ds_read2st64_b32 v[6:7], v2 offset1:2
	v_add_u32_e32 v8, 2, v0
	v_min_i32_e32 v8, s4, v8
	v_lshlrev_b32_e32 v13, 2, v8
	ds_read2st64_b32 v[8:9], v13 offset1:2
	s_waitcnt lgkmcnt(1)
	v_div_scale_f32 v10, s[2:3], v7, v7, v12
	v_div_scale_f32 v11, vcc, v12, v7, v12
	s_waitcnt lgkmcnt(0)
	v_div_scale_f32 v17, s[2:3], v9, v9, v15
	v_div_scale_f32 v18, s[2:3], v15, v9, v15
	v_rcp_f32_e32 v19, v10
	v_fma_f32 v20, -v10, v19, 1.0
	v_fmac_f32_e32 v19, v20, v19
	v_mul_f32_e32 v20, v11, v19
	v_fma_f32 v21, -v10, v20, v11
	v_fmac_f32_e32 v20, v21, v19
	v_rcp_f32_e32 v21, v17
	v_fma_f32 v10, -v10, v20, v11
	v_div_fmas_f32 v19, v10, v19, v20
	s_mov_b64 vcc, s[2:3]
	v_fma_f32 v10, -v17, v21, 1.0
	v_fmac_f32_e32 v21, v10, v21
	v_mul_f32_e32 v10, v18, v21
	v_fma_f32 v11, -v17, v10, v18
	v_fmac_f32_e32 v10, v11, v21
	v_fma_f32 v11, -v17, v10, v18
	v_div_fmas_f32 v17, v11, v21, v10
	ds_read2st64_b32 v[10:11], v2 offset0:4 offset1:8
	v_div_fixup_f32 v2, v19, v7, v12
	ds_read2st64_b32 v[12:13], v13 offset0:4 offset1:8
	s_waitcnt lgkmcnt(0)
	s_barrier
	v_div_fixup_f32 v7, v17, v9, v15
	v_fma_f32 v9, -v2, v10, v16
	v_fma_f32 v8, -v7, v8, v9
	v_fma_f32 v9, -v2, v11, v14
	v_mul_f32_e64 v2, v2, -v6
	v_fma_f32 v9, -v7, v13, v9
	v_mul_f32_e64 v6, v7, -v12
	ds_write_b32 v4, v8
	ds_write_b32 v3, v9 offset:2048
	ds_write_b32 v3, v2
	ds_write_b32 v5, v6
	v_sub_u32_e64 v2, v0, 4 clamp
	v_lshlrev_b32_e32 v2, 2, v2
	s_waitcnt lgkmcnt(0)
	s_barrier
	ds_read_b32 v12, v3
	ds_read_b32 v14, v3 offset:2048
	ds_read_b32 v15, v5
	ds_read_b32 v16, v4
	ds_read2st64_b32 v[6:7], v2 offset1:2
	v_add_u32_e32 v8, 4, v0
	v_min_i32_e32 v8, s4, v8
	v_lshlrev_b32_e32 v13, 2, v8
	ds_read2st64_b32 v[8:9], v13 offset1:2
	s_waitcnt lgkmcnt(1)
	v_div_scale_f32 v10, s[2:3], v7, v7, v12
	v_div_scale_f32 v11, vcc, v12, v7, v12
	s_waitcnt lgkmcnt(0)
	v_div_scale_f32 v17, s[2:3], v9, v9, v15
	v_div_scale_f32 v18, s[2:3], v15, v9, v15
	v_rcp_f32_e32 v19, v10
	v_fma_f32 v20, -v10, v19, 1.0
	v_fmac_f32_e32 v19, v20, v19
	v_mul_f32_e32 v20, v11, v19
	v_fma_f32 v21, -v10, v20, v11
	v_fmac_f32_e32 v20, v21, v19
	v_rcp_f32_e32 v21, v17
	v_fma_f32 v10, -v10, v20, v11
	v_div_fmas_f32 v19, v10, v19, v20
	s_mov_b64 vcc, s[2:3]
	v_fma_f32 v10, -v17, v21, 1.0
	v_fmac_f32_e32 v21, v10, v21
	v_mul_f32_e32 v10, v18, v21
	v_fma_f32 v11, -v17, v10, v18
	v_fmac_f32_e32 v10, v11, v21
	v_fma_f32 v11, -v17, v10, v18
	v_div_fmas_f32 v17, v11, v21, v10
	ds_read2st64_b32 v[10:11], v2 offset0:4 offset1:8
	v_div_fixup_f32 v2, v19, v7, v12
	ds_read2st64_b32 v[12:13], v13 offset0:4 offset1:8
	s_waitcnt lgkmcnt(0)
	s_barrier
	v_div_fixup_f32 v7, v17, v9, v15
	v_fma_f32 v9, -v2, v10, v16
	v_fma_f32 v8, -v7, v8, v9
	v_fma_f32 v9, -v2, v11, v14
	v_mul_f32_e64 v2, v2, -v6
	;; [unrolled: 52-line block ×4, first 2 shown]
	v_fma_f32 v9, -v7, v13, v9
	v_mul_f32_e64 v6, v7, -v12
	ds_write_b32 v4, v8
	ds_write_b32 v3, v9 offset:2048
	ds_write_b32 v3, v2
	ds_write_b32 v5, v6
	v_sub_u32_e64 v2, v0, 32 clamp
	v_lshlrev_b32_e32 v2, 2, v2
	s_waitcnt lgkmcnt(0)
	s_barrier
	ds_read_b32 v12, v3
	ds_read_b32 v14, v3 offset:2048
	ds_read_b32 v15, v5
	ds_read_b32 v16, v4
	ds_read2st64_b32 v[6:7], v2 offset1:2
	v_add_u32_e32 v8, 32, v0
	v_min_i32_e32 v8, s4, v8
	v_lshlrev_b32_e32 v13, 2, v8
	ds_read2st64_b32 v[8:9], v13 offset1:2
	s_waitcnt lgkmcnt(1)
	v_div_scale_f32 v10, s[2:3], v7, v7, v12
	v_div_scale_f32 v11, vcc, v12, v7, v12
	s_waitcnt lgkmcnt(0)
	v_div_scale_f32 v17, s[2:3], v9, v9, v15
	v_div_scale_f32 v18, s[2:3], v15, v9, v15
	v_rcp_f32_e32 v19, v10
	v_fma_f32 v20, -v10, v19, 1.0
	v_fmac_f32_e32 v19, v20, v19
	v_mul_f32_e32 v20, v11, v19
	v_fma_f32 v21, -v10, v20, v11
	v_fmac_f32_e32 v20, v21, v19
	v_rcp_f32_e32 v21, v17
	v_fma_f32 v10, -v10, v20, v11
	v_div_fmas_f32 v19, v10, v19, v20
	s_mov_b64 vcc, s[2:3]
	v_fma_f32 v10, -v17, v21, 1.0
	v_fmac_f32_e32 v21, v10, v21
	v_mul_f32_e32 v10, v18, v21
	v_fma_f32 v11, -v17, v10, v18
	v_fmac_f32_e32 v10, v11, v21
	v_fma_f32 v11, -v17, v10, v18
	v_div_fmas_f32 v17, v11, v21, v10
	ds_read2st64_b32 v[10:11], v2 offset0:4 offset1:8
	v_cmp_gt_u32_e32 vcc, 64, v0
	v_div_fixup_f32 v2, v19, v7, v12
	ds_read2st64_b32 v[12:13], v13 offset0:4 offset1:8
	s_waitcnt lgkmcnt(0)
	s_barrier
	v_div_fixup_f32 v7, v17, v9, v15
	v_fma_f32 v9, -v2, v10, v16
	v_fma_f32 v8, -v7, v8, v9
	;; [unrolled: 1-line block ×4, first 2 shown]
	v_mul_f32_e64 v2, v2, -v6
	v_mul_f32_e64 v6, v7, -v12
	ds_write_b32 v4, v8
	ds_write_b32 v3, v9 offset:2048
	ds_write_b32 v3, v2
	ds_write_b32 v5, v6
	s_waitcnt lgkmcnt(0)
	s_barrier
	s_and_saveexec_b64 s[2:3], vcc
	s_cbranch_execz .LBB14_14
; %bb.9:
	v_or_b32_e32 v2, 64, v0
	v_or_b32_e32 v6, 0x800, v3
	v_cmp_le_i32_e32 vcc, s7, v2
                                        ; implicit-def: $vgpr7
	s_and_saveexec_b64 s[4:5], vcc
	s_xor_b64 s[4:5], exec, s[4:5]
	s_cbranch_execz .LBB14_11
; %bb.10:
	ds_read_b32 v2, v6
	ds_read_b32 v4, v4
	s_waitcnt lgkmcnt(0)
	v_div_scale_f32 v5, s[6:7], v4, v4, v2
	v_div_scale_f32 v6, vcc, v2, v4, v2
	v_rcp_f32_e32 v7, v5
	v_fma_f32 v8, -v5, v7, 1.0
	v_fmac_f32_e32 v7, v8, v7
	v_mul_f32_e32 v8, v6, v7
	v_fma_f32 v9, -v5, v8, v6
	v_fmac_f32_e32 v8, v9, v7
	v_fma_f32 v5, -v5, v8, v6
	v_div_fmas_f32 v5, v5, v7, v8
                                        ; implicit-def: $vgpr6
	v_div_fixup_f32 v7, v5, v4, v2
                                        ; implicit-def: $vgpr4
                                        ; implicit-def: $vgpr5
                                        ; implicit-def: $vgpr2
.LBB14_11:
	s_andn2_saveexec_b64 s[4:5], s[4:5]
	s_cbranch_execz .LBB14_13
; %bb.12:
	ds_read_b32 v0, v5
	ds_read_b32 v8, v3 offset:256
	ds_read2st64_b32 v[4:5], v4 offset1:1
	s_waitcnt lgkmcnt(1)
	v_mul_f32_e32 v7, v0, v8
	s_waitcnt lgkmcnt(0)
	v_fma_f32 v9, v5, v4, -v7
	v_div_scale_f32 v7, s[6:7], v9, v9, 1.0
	v_div_scale_f32 v10, vcc, 1.0, v9, 1.0
	v_rcp_f32_e32 v11, v7
	v_fma_f32 v12, -v7, v11, 1.0
	v_fmac_f32_e32 v11, v12, v11
	v_mul_f32_e32 v12, v10, v11
	v_fma_f32 v13, -v7, v12, v10
	v_fmac_f32_e32 v12, v13, v11
	v_fma_f32 v7, -v7, v12, v10
	v_div_fmas_f32 v10, v7, v11, v12
	ds_read2st64_b32 v[6:7], v6 offset1:1
	s_waitcnt lgkmcnt(0)
	v_mul_f32_e32 v0, v0, v7
	v_mul_f32_e32 v8, v8, v6
	v_fma_f32 v0, v5, v6, -v0
	v_fma_f32 v4, v4, v7, -v8
	v_div_fixup_f32 v5, v10, v9, 1.0
	v_mul_f32_e32 v0, v5, v0
	v_mul_f32_e32 v7, v5, v4
	ds_write_b32 v3, v0 offset:1536
	v_mov_b32_e32 v0, v2
.LBB14_13:
	s_or_b64 exec, exec, s[4:5]
	v_lshlrev_b32_e32 v0, 2, v0
	ds_write_b32 v0, v7 offset:1536
.LBB14_14:
	s_or_b64 exec, exec, s[2:3]
	s_waitcnt lgkmcnt(0)
	s_barrier
	s_and_saveexec_b64 s[2:3], s[0:1]
	s_cbranch_execz .LBB14_16
; %bb.15:
	v_mov_b32_e32 v2, 0
	ds_read_b32 v3, v3 offset:1536
	v_lshlrev_b64 v[0:1], 2, v[1:2]
	v_mov_b32_e32 v2, s9
	v_add_co_u32_e32 v0, vcc, s8, v0
	v_addc_co_u32_e32 v1, vcc, v2, v1, vcc
	s_waitcnt lgkmcnt(0)
	global_store_dword v[0:1], v3, off
.LBB14_16:
	s_endpgm
	.section	.rodata,"a",@progbits
	.p2align	6, 0x0
	.amdhsa_kernel _ZN9rocsparseL30gtsv_nopivot_pcr_shared_kernelILj128EfEEviiiPKT0_S3_S3_PS1_
		.amdhsa_group_segment_fixed_size 2560
		.amdhsa_private_segment_fixed_size 0
		.amdhsa_kernarg_size 48
		.amdhsa_user_sgpr_count 6
		.amdhsa_user_sgpr_private_segment_buffer 1
		.amdhsa_user_sgpr_dispatch_ptr 0
		.amdhsa_user_sgpr_queue_ptr 0
		.amdhsa_user_sgpr_kernarg_segment_ptr 1
		.amdhsa_user_sgpr_dispatch_id 0
		.amdhsa_user_sgpr_flat_scratch_init 0
		.amdhsa_user_sgpr_private_segment_size 0
		.amdhsa_uses_dynamic_stack 0
		.amdhsa_system_sgpr_private_segment_wavefront_offset 0
		.amdhsa_system_sgpr_workgroup_id_x 1
		.amdhsa_system_sgpr_workgroup_id_y 0
		.amdhsa_system_sgpr_workgroup_id_z 0
		.amdhsa_system_sgpr_workgroup_info 0
		.amdhsa_system_vgpr_workitem_id 0
		.amdhsa_next_free_vgpr 29
		.amdhsa_next_free_sgpr 61
		.amdhsa_reserve_vcc 1
		.amdhsa_reserve_flat_scratch 0
		.amdhsa_float_round_mode_32 0
		.amdhsa_float_round_mode_16_64 0
		.amdhsa_float_denorm_mode_32 3
		.amdhsa_float_denorm_mode_16_64 3
		.amdhsa_dx10_clamp 1
		.amdhsa_ieee_mode 1
		.amdhsa_fp16_overflow 0
		.amdhsa_exception_fp_ieee_invalid_op 0
		.amdhsa_exception_fp_denorm_src 0
		.amdhsa_exception_fp_ieee_div_zero 0
		.amdhsa_exception_fp_ieee_overflow 0
		.amdhsa_exception_fp_ieee_underflow 0
		.amdhsa_exception_fp_ieee_inexact 0
		.amdhsa_exception_int_div_zero 0
	.end_amdhsa_kernel
	.section	.text._ZN9rocsparseL30gtsv_nopivot_pcr_shared_kernelILj128EfEEviiiPKT0_S3_S3_PS1_,"axG",@progbits,_ZN9rocsparseL30gtsv_nopivot_pcr_shared_kernelILj128EfEEviiiPKT0_S3_S3_PS1_,comdat
.Lfunc_end14:
	.size	_ZN9rocsparseL30gtsv_nopivot_pcr_shared_kernelILj128EfEEviiiPKT0_S3_S3_PS1_, .Lfunc_end14-_ZN9rocsparseL30gtsv_nopivot_pcr_shared_kernelILj128EfEEviiiPKT0_S3_S3_PS1_
                                        ; -- End function
	.set _ZN9rocsparseL30gtsv_nopivot_pcr_shared_kernelILj128EfEEviiiPKT0_S3_S3_PS1_.num_vgpr, 23
	.set _ZN9rocsparseL30gtsv_nopivot_pcr_shared_kernelILj128EfEEviiiPKT0_S3_S3_PS1_.num_agpr, 0
	.set _ZN9rocsparseL30gtsv_nopivot_pcr_shared_kernelILj128EfEEviiiPKT0_S3_S3_PS1_.numbered_sgpr, 12
	.set _ZN9rocsparseL30gtsv_nopivot_pcr_shared_kernelILj128EfEEviiiPKT0_S3_S3_PS1_.num_named_barrier, 0
	.set _ZN9rocsparseL30gtsv_nopivot_pcr_shared_kernelILj128EfEEviiiPKT0_S3_S3_PS1_.private_seg_size, 0
	.set _ZN9rocsparseL30gtsv_nopivot_pcr_shared_kernelILj128EfEEviiiPKT0_S3_S3_PS1_.uses_vcc, 1
	.set _ZN9rocsparseL30gtsv_nopivot_pcr_shared_kernelILj128EfEEviiiPKT0_S3_S3_PS1_.uses_flat_scratch, 0
	.set _ZN9rocsparseL30gtsv_nopivot_pcr_shared_kernelILj128EfEEviiiPKT0_S3_S3_PS1_.has_dyn_sized_stack, 0
	.set _ZN9rocsparseL30gtsv_nopivot_pcr_shared_kernelILj128EfEEviiiPKT0_S3_S3_PS1_.has_recursion, 0
	.set _ZN9rocsparseL30gtsv_nopivot_pcr_shared_kernelILj128EfEEviiiPKT0_S3_S3_PS1_.has_indirect_call, 0
	.section	.AMDGPU.csdata,"",@progbits
; Kernel info:
; codeLenInByte = 2720
; TotalNumSgprs: 16
; NumVgprs: 23
; ScratchSize: 0
; MemoryBound: 0
; FloatMode: 240
; IeeeMode: 1
; LDSByteSize: 2560 bytes/workgroup (compile time only)
; SGPRBlocks: 8
; VGPRBlocks: 7
; NumSGPRsForWavesPerEU: 65
; NumVGPRsForWavesPerEU: 29
; Occupancy: 8
; WaveLimiterHint : 0
; COMPUTE_PGM_RSRC2:SCRATCH_EN: 0
; COMPUTE_PGM_RSRC2:USER_SGPR: 6
; COMPUTE_PGM_RSRC2:TRAP_HANDLER: 0
; COMPUTE_PGM_RSRC2:TGID_X_EN: 1
; COMPUTE_PGM_RSRC2:TGID_Y_EN: 0
; COMPUTE_PGM_RSRC2:TGID_Z_EN: 0
; COMPUTE_PGM_RSRC2:TIDIG_COMP_CNT: 0
	.section	.text._ZN9rocsparseL30gtsv_nopivot_pcr_shared_kernelILj256EfEEviiiPKT0_S3_S3_PS1_,"axG",@progbits,_ZN9rocsparseL30gtsv_nopivot_pcr_shared_kernelILj256EfEEviiiPKT0_S3_S3_PS1_,comdat
	.globl	_ZN9rocsparseL30gtsv_nopivot_pcr_shared_kernelILj256EfEEviiiPKT0_S3_S3_PS1_ ; -- Begin function _ZN9rocsparseL30gtsv_nopivot_pcr_shared_kernelILj256EfEEviiiPKT0_S3_S3_PS1_
	.p2align	8
	.type	_ZN9rocsparseL30gtsv_nopivot_pcr_shared_kernelILj256EfEEviiiPKT0_S3_S3_PS1_,@function
_ZN9rocsparseL30gtsv_nopivot_pcr_shared_kernelILj256EfEEviiiPKT0_S3_S3_PS1_: ; @_ZN9rocsparseL30gtsv_nopivot_pcr_shared_kernelILj256EfEEviiiPKT0_S3_S3_PS1_
; %bb.0:
	s_load_dword s7, s[4:5], 0x0
	v_mov_b32_e32 v1, 0
	v_lshlrev_b32_e32 v3, 2, v0
	v_mov_b32_e32 v2, 0
	s_waitcnt lgkmcnt(0)
	v_cmp_gt_i32_e64 s[0:1], s7, v0
	s_and_saveexec_b64 s[2:3], s[0:1]
	s_cbranch_execz .LBB15_2
; %bb.1:
	s_load_dwordx2 s[8:9], s[4:5], 0x10
	s_waitcnt lgkmcnt(0)
	global_load_dword v2, v3, s[8:9]
.LBB15_2:
	s_or_b64 exec, exec, s[2:3]
	s_waitcnt vmcnt(0)
	ds_write_b32 v3, v2
	s_and_saveexec_b64 s[2:3], s[0:1]
	s_cbranch_execz .LBB15_4
; %bb.3:
	s_load_dwordx2 s[8:9], s[4:5], 0x18
	s_waitcnt lgkmcnt(0)
	global_load_dword v1, v3, s[8:9]
.LBB15_4:
	s_or_b64 exec, exec, s[2:3]
	s_load_dwordx2 s[8:9], s[4:5], 0x28
	s_waitcnt vmcnt(0)
	ds_write_b32 v3, v1 offset:1024
	v_mov_b32_e32 v2, 0
	v_mov_b32_e32 v1, 0
	s_and_saveexec_b64 s[2:3], s[0:1]
	s_cbranch_execz .LBB15_6
; %bb.5:
	s_load_dwordx2 s[10:11], s[4:5], 0x20
	s_waitcnt lgkmcnt(0)
	global_load_dword v1, v3, s[10:11]
.LBB15_6:
	s_or_b64 exec, exec, s[2:3]
	s_load_dword s2, s[4:5], 0x8
	v_or_b32_e32 v4, 0x400, v3
	v_or_b32_e32 v5, 0x800, v3
	s_waitcnt vmcnt(0)
	ds_write_b32 v3, v1 offset:2048
	s_waitcnt lgkmcnt(0)
	s_mul_i32 s2, s2, s6
	v_add_u32_e32 v1, s2, v0
	s_and_saveexec_b64 s[2:3], s[0:1]
	s_cbranch_execz .LBB15_8
; %bb.7:
	v_mov_b32_e32 v2, 0
	v_lshlrev_b64 v[6:7], 2, v[1:2]
	v_mov_b32_e32 v2, s9
	v_add_co_u32_e32 v6, vcc, s8, v6
	v_addc_co_u32_e32 v7, vcc, v2, v7, vcc
	global_load_dword v2, v[6:7], off
.LBB15_8:
	s_or_b64 exec, exec, s[2:3]
	s_waitcnt vmcnt(0)
	ds_write_b32 v3, v2 offset:4096
	v_sub_u32_e64 v2, v0, 1 clamp
	v_lshlrev_b32_e32 v2, 2, v2
	s_waitcnt lgkmcnt(0)
	s_barrier
	ds_read2st64_b32 v[6:7], v2 offset1:4
	ds_read_b32 v14, v3
	ds_read_b32 v15, v3 offset:4096
	s_add_i32 s4, s7, -1
	v_add_u32_e32 v8, 1, v0
	v_min_i32_e32 v8, s4, v8
	s_waitcnt lgkmcnt(1)
	v_div_scale_f32 v10, s[2:3], v7, v7, v14
	v_div_scale_f32 v11, vcc, v14, v7, v14
	v_lshlrev_b32_e32 v12, 2, v8
	ds_read_b32 v16, v5
	ds_read_b32 v17, v4
	ds_read2st64_b32 v[8:9], v12 offset1:4
	s_waitcnt lgkmcnt(0)
	v_div_scale_f32 v18, s[2:3], v9, v9, v16
	v_rcp_f32_e32 v13, v10
	v_fma_f32 v19, -v10, v13, 1.0
	v_fmac_f32_e32 v13, v19, v13
	v_mul_f32_e32 v19, v11, v13
	v_fma_f32 v20, -v10, v19, v11
	v_fmac_f32_e32 v19, v20, v13
	v_div_scale_f32 v20, s[2:3], v16, v9, v16
	v_fma_f32 v10, -v10, v19, v11
	v_rcp_f32_e32 v11, v18
	v_div_fmas_f32 v19, v10, v13, v19
	s_mov_b64 vcc, s[2:3]
	v_fma_f32 v10, -v18, v11, 1.0
	v_fmac_f32_e32 v11, v10, v11
	v_mul_f32_e32 v10, v20, v11
	v_fma_f32 v13, -v18, v10, v20
	v_fmac_f32_e32 v10, v13, v11
	v_fma_f32 v13, -v18, v10, v20
	v_div_fmas_f32 v18, v13, v11, v10
	ds_read2st64_b32 v[10:11], v2 offset0:8 offset1:16
	ds_read2st64_b32 v[12:13], v12 offset0:8 offset1:16
	v_div_fixup_f32 v2, v19, v7, v14
	s_waitcnt lgkmcnt(0)
	s_barrier
	v_div_fixup_f32 v7, v18, v9, v16
	v_fma_f32 v9, -v2, v10, v17
	v_fma_f32 v10, -v2, v11, v15
	v_mul_f32_e64 v2, v2, -v6
	v_fma_f32 v6, -v7, v8, v9
	v_fma_f32 v8, -v7, v13, v10
	v_mul_f32_e64 v7, v7, -v12
	ds_write_b32 v4, v6
	ds_write_b32 v3, v8 offset:4096
	ds_write_b32 v3, v2
	ds_write_b32 v5, v7
	v_sub_u32_e64 v2, v0, 2 clamp
	v_lshlrev_b32_e32 v2, 2, v2
	s_waitcnt lgkmcnt(0)
	s_barrier
	ds_read2st64_b32 v[6:7], v2 offset1:4
	ds_read_b32 v12, v3
	ds_read_b32 v14, v3 offset:4096
	v_add_u32_e32 v8, 2, v0
	v_min_i32_e32 v8, s4, v8
	v_lshlrev_b32_e32 v15, 2, v8
	s_waitcnt lgkmcnt(1)
	v_div_scale_f32 v10, s[2:3], v7, v7, v12
	v_div_scale_f32 v11, vcc, v12, v7, v12
	ds_read2st64_b32 v[8:9], v15 offset1:4
	ds_read_b32 v16, v5
	ds_read_b32 v17, v4
	s_waitcnt lgkmcnt(1)
	v_div_scale_f32 v19, s[2:3], v9, v9, v16
	v_rcp_f32_e32 v13, v10
	v_fma_f32 v18, -v10, v13, 1.0
	v_fmac_f32_e32 v13, v18, v13
	v_mul_f32_e32 v18, v11, v13
	v_fma_f32 v20, -v10, v18, v11
	v_fmac_f32_e32 v18, v20, v13
	v_div_scale_f32 v20, s[2:3], v16, v9, v16
	v_fma_f32 v10, -v10, v18, v11
	v_rcp_f32_e32 v11, v19
	v_div_fmas_f32 v13, v10, v13, v18
	s_mov_b64 vcc, s[2:3]
	v_fma_f32 v10, -v19, v11, 1.0
	v_fmac_f32_e32 v11, v10, v11
	v_mul_f32_e32 v10, v20, v11
	v_fma_f32 v18, -v19, v10, v20
	v_fmac_f32_e32 v10, v18, v11
	v_fma_f32 v18, -v19, v10, v20
	v_div_fmas_f32 v18, v18, v11, v10
	ds_read2st64_b32 v[10:11], v2 offset0:8 offset1:16
	v_div_fixup_f32 v2, v13, v7, v12
	ds_read2st64_b32 v[12:13], v15 offset0:8 offset1:16
	s_waitcnt lgkmcnt(0)
	s_barrier
	v_div_fixup_f32 v7, v18, v9, v16
	v_fma_f32 v9, -v2, v10, v17
	v_fma_f32 v8, -v7, v8, v9
	v_fma_f32 v9, -v2, v11, v14
	v_mul_f32_e64 v2, v2, -v6
	v_fma_f32 v9, -v7, v13, v9
	v_mul_f32_e64 v6, v7, -v12
	ds_write_b32 v4, v8
	ds_write_b32 v3, v9 offset:4096
	ds_write_b32 v3, v2
	ds_write_b32 v5, v6
	v_sub_u32_e64 v2, v0, 4 clamp
	v_lshlrev_b32_e32 v2, 2, v2
	s_waitcnt lgkmcnt(0)
	s_barrier
	ds_read2st64_b32 v[6:7], v2 offset1:4
	ds_read_b32 v12, v3
	ds_read_b32 v14, v3 offset:4096
	v_add_u32_e32 v8, 4, v0
	v_min_i32_e32 v8, s4, v8
	v_lshlrev_b32_e32 v15, 2, v8
	s_waitcnt lgkmcnt(1)
	v_div_scale_f32 v10, s[2:3], v7, v7, v12
	v_div_scale_f32 v11, vcc, v12, v7, v12
	ds_read2st64_b32 v[8:9], v15 offset1:4
	ds_read_b32 v16, v5
	ds_read_b32 v17, v4
	s_waitcnt lgkmcnt(1)
	v_div_scale_f32 v19, s[2:3], v9, v9, v16
	v_rcp_f32_e32 v13, v10
	v_fma_f32 v18, -v10, v13, 1.0
	v_fmac_f32_e32 v13, v18, v13
	v_mul_f32_e32 v18, v11, v13
	v_fma_f32 v20, -v10, v18, v11
	v_fmac_f32_e32 v18, v20, v13
	v_div_scale_f32 v20, s[2:3], v16, v9, v16
	v_fma_f32 v10, -v10, v18, v11
	v_rcp_f32_e32 v11, v19
	v_div_fmas_f32 v13, v10, v13, v18
	s_mov_b64 vcc, s[2:3]
	v_fma_f32 v10, -v19, v11, 1.0
	v_fmac_f32_e32 v11, v10, v11
	v_mul_f32_e32 v10, v20, v11
	v_fma_f32 v18, -v19, v10, v20
	v_fmac_f32_e32 v10, v18, v11
	v_fma_f32 v18, -v19, v10, v20
	v_div_fmas_f32 v18, v18, v11, v10
	ds_read2st64_b32 v[10:11], v2 offset0:8 offset1:16
	v_div_fixup_f32 v2, v13, v7, v12
	ds_read2st64_b32 v[12:13], v15 offset0:8 offset1:16
	s_waitcnt lgkmcnt(0)
	s_barrier
	v_div_fixup_f32 v7, v18, v9, v16
	v_fma_f32 v9, -v2, v10, v17
	v_fma_f32 v8, -v7, v8, v9
	v_fma_f32 v9, -v2, v11, v14
	v_mul_f32_e64 v2, v2, -v6
	;; [unrolled: 52-line block ×5, first 2 shown]
	v_fma_f32 v9, -v7, v13, v9
	v_mul_f32_e64 v6, v7, -v12
	ds_write_b32 v4, v8
	ds_write_b32 v3, v9 offset:4096
	ds_write_b32 v3, v2
	ds_write_b32 v5, v6
	v_sub_u32_e64 v2, v0, 64 clamp
	v_lshlrev_b32_e32 v2, 2, v2
	s_waitcnt lgkmcnt(0)
	s_barrier
	ds_read2st64_b32 v[6:7], v2 offset1:4
	ds_read_b32 v12, v3
	ds_read_b32 v14, v3 offset:4096
	v_add_u32_e32 v8, 64, v0
	v_min_i32_e32 v8, s4, v8
	v_lshlrev_b32_e32 v15, 2, v8
	s_waitcnt lgkmcnt(1)
	v_div_scale_f32 v10, s[2:3], v7, v7, v12
	v_div_scale_f32 v11, vcc, v12, v7, v12
	ds_read2st64_b32 v[8:9], v15 offset1:4
	ds_read_b32 v16, v5
	ds_read_b32 v17, v4
	s_waitcnt lgkmcnt(1)
	v_div_scale_f32 v19, s[2:3], v9, v9, v16
	v_rcp_f32_e32 v13, v10
	v_fma_f32 v18, -v10, v13, 1.0
	v_fmac_f32_e32 v13, v18, v13
	v_mul_f32_e32 v18, v11, v13
	v_fma_f32 v20, -v10, v18, v11
	v_fmac_f32_e32 v18, v20, v13
	v_div_scale_f32 v20, s[2:3], v16, v9, v16
	v_fma_f32 v10, -v10, v18, v11
	v_rcp_f32_e32 v11, v19
	v_div_fmas_f32 v13, v10, v13, v18
	s_mov_b64 vcc, s[2:3]
	s_movk_i32 s2, 0x80
	v_fma_f32 v10, -v19, v11, 1.0
	v_fmac_f32_e32 v11, v10, v11
	v_mul_f32_e32 v10, v20, v11
	v_fma_f32 v18, -v19, v10, v20
	v_fmac_f32_e32 v10, v18, v11
	v_fma_f32 v18, -v19, v10, v20
	v_div_fmas_f32 v18, v18, v11, v10
	ds_read2st64_b32 v[10:11], v2 offset0:8 offset1:16
	v_div_fixup_f32 v2, v13, v7, v12
	ds_read2st64_b32 v[12:13], v15 offset0:8 offset1:16
	v_cmp_gt_u32_e32 vcc, s2, v0
	s_waitcnt lgkmcnt(0)
	s_barrier
	v_div_fixup_f32 v7, v18, v9, v16
	v_fma_f32 v9, -v2, v10, v17
	v_fma_f32 v8, -v7, v8, v9
	v_fma_f32 v9, -v2, v11, v14
	v_fma_f32 v9, -v7, v13, v9
	v_mul_f32_e64 v2, v2, -v6
	v_mul_f32_e64 v6, v7, -v12
	ds_write_b32 v4, v8
	ds_write_b32 v3, v9 offset:4096
	ds_write_b32 v3, v2
	ds_write_b32 v5, v6
	s_waitcnt lgkmcnt(0)
	s_barrier
	s_and_saveexec_b64 s[2:3], vcc
	s_cbranch_execz .LBB15_14
; %bb.9:
	v_or_b32_e32 v2, 0x80, v0
	v_or_b32_e32 v6, 0x1000, v3
	v_cmp_le_i32_e32 vcc, s7, v2
                                        ; implicit-def: $vgpr7
	s_and_saveexec_b64 s[4:5], vcc
	s_xor_b64 s[4:5], exec, s[4:5]
	s_cbranch_execz .LBB15_11
; %bb.10:
	ds_read_b32 v2, v6
	ds_read_b32 v4, v4
	s_waitcnt lgkmcnt(0)
	v_div_scale_f32 v5, s[6:7], v4, v4, v2
	v_div_scale_f32 v6, vcc, v2, v4, v2
	v_rcp_f32_e32 v7, v5
	v_fma_f32 v8, -v5, v7, 1.0
	v_fmac_f32_e32 v7, v8, v7
	v_mul_f32_e32 v8, v6, v7
	v_fma_f32 v9, -v5, v8, v6
	v_fmac_f32_e32 v8, v9, v7
	v_fma_f32 v5, -v5, v8, v6
	v_div_fmas_f32 v5, v5, v7, v8
                                        ; implicit-def: $vgpr6
	v_div_fixup_f32 v7, v5, v4, v2
                                        ; implicit-def: $vgpr4
                                        ; implicit-def: $vgpr5
                                        ; implicit-def: $vgpr2
.LBB15_11:
	s_andn2_saveexec_b64 s[4:5], s[4:5]
	s_cbranch_execz .LBB15_13
; %bb.12:
	ds_read_b32 v0, v5
	ds_read_b32 v8, v3 offset:512
	ds_read2st64_b32 v[4:5], v4 offset1:2
	s_waitcnt lgkmcnt(1)
	v_mul_f32_e32 v7, v0, v8
	s_waitcnt lgkmcnt(0)
	v_fma_f32 v9, v5, v4, -v7
	v_div_scale_f32 v7, s[6:7], v9, v9, 1.0
	v_div_scale_f32 v10, vcc, 1.0, v9, 1.0
	v_rcp_f32_e32 v11, v7
	v_fma_f32 v12, -v7, v11, 1.0
	v_fmac_f32_e32 v11, v12, v11
	v_mul_f32_e32 v12, v10, v11
	v_fma_f32 v13, -v7, v12, v10
	v_fmac_f32_e32 v12, v13, v11
	v_fma_f32 v7, -v7, v12, v10
	v_div_fmas_f32 v10, v7, v11, v12
	ds_read2st64_b32 v[6:7], v6 offset1:2
	s_waitcnt lgkmcnt(0)
	v_mul_f32_e32 v0, v0, v7
	v_mul_f32_e32 v8, v8, v6
	v_fma_f32 v0, v5, v6, -v0
	v_fma_f32 v4, v4, v7, -v8
	v_div_fixup_f32 v5, v10, v9, 1.0
	v_mul_f32_e32 v0, v5, v0
	v_mul_f32_e32 v7, v5, v4
	ds_write_b32 v3, v0 offset:3072
	v_mov_b32_e32 v0, v2
.LBB15_13:
	s_or_b64 exec, exec, s[4:5]
	v_lshlrev_b32_e32 v0, 2, v0
	ds_write_b32 v0, v7 offset:3072
.LBB15_14:
	s_or_b64 exec, exec, s[2:3]
	s_waitcnt lgkmcnt(0)
	s_barrier
	s_and_saveexec_b64 s[2:3], s[0:1]
	s_cbranch_execz .LBB15_16
; %bb.15:
	v_mov_b32_e32 v2, 0
	ds_read_b32 v3, v3 offset:3072
	v_lshlrev_b64 v[0:1], 2, v[1:2]
	v_mov_b32_e32 v2, s9
	v_add_co_u32_e32 v0, vcc, s8, v0
	v_addc_co_u32_e32 v1, vcc, v2, v1, vcc
	s_waitcnt lgkmcnt(0)
	global_store_dword v[0:1], v3, off
.LBB15_16:
	s_endpgm
	.section	.rodata,"a",@progbits
	.p2align	6, 0x0
	.amdhsa_kernel _ZN9rocsparseL30gtsv_nopivot_pcr_shared_kernelILj256EfEEviiiPKT0_S3_S3_PS1_
		.amdhsa_group_segment_fixed_size 5120
		.amdhsa_private_segment_fixed_size 0
		.amdhsa_kernarg_size 48
		.amdhsa_user_sgpr_count 6
		.amdhsa_user_sgpr_private_segment_buffer 1
		.amdhsa_user_sgpr_dispatch_ptr 0
		.amdhsa_user_sgpr_queue_ptr 0
		.amdhsa_user_sgpr_kernarg_segment_ptr 1
		.amdhsa_user_sgpr_dispatch_id 0
		.amdhsa_user_sgpr_flat_scratch_init 0
		.amdhsa_user_sgpr_private_segment_size 0
		.amdhsa_uses_dynamic_stack 0
		.amdhsa_system_sgpr_private_segment_wavefront_offset 0
		.amdhsa_system_sgpr_workgroup_id_x 1
		.amdhsa_system_sgpr_workgroup_id_y 0
		.amdhsa_system_sgpr_workgroup_id_z 0
		.amdhsa_system_sgpr_workgroup_info 0
		.amdhsa_system_vgpr_workitem_id 0
		.amdhsa_next_free_vgpr 21
		.amdhsa_next_free_sgpr 12
		.amdhsa_reserve_vcc 1
		.amdhsa_reserve_flat_scratch 0
		.amdhsa_float_round_mode_32 0
		.amdhsa_float_round_mode_16_64 0
		.amdhsa_float_denorm_mode_32 3
		.amdhsa_float_denorm_mode_16_64 3
		.amdhsa_dx10_clamp 1
		.amdhsa_ieee_mode 1
		.amdhsa_fp16_overflow 0
		.amdhsa_exception_fp_ieee_invalid_op 0
		.amdhsa_exception_fp_denorm_src 0
		.amdhsa_exception_fp_ieee_div_zero 0
		.amdhsa_exception_fp_ieee_overflow 0
		.amdhsa_exception_fp_ieee_underflow 0
		.amdhsa_exception_fp_ieee_inexact 0
		.amdhsa_exception_int_div_zero 0
	.end_amdhsa_kernel
	.section	.text._ZN9rocsparseL30gtsv_nopivot_pcr_shared_kernelILj256EfEEviiiPKT0_S3_S3_PS1_,"axG",@progbits,_ZN9rocsparseL30gtsv_nopivot_pcr_shared_kernelILj256EfEEviiiPKT0_S3_S3_PS1_,comdat
.Lfunc_end15:
	.size	_ZN9rocsparseL30gtsv_nopivot_pcr_shared_kernelILj256EfEEviiiPKT0_S3_S3_PS1_, .Lfunc_end15-_ZN9rocsparseL30gtsv_nopivot_pcr_shared_kernelILj256EfEEviiiPKT0_S3_S3_PS1_
                                        ; -- End function
	.set _ZN9rocsparseL30gtsv_nopivot_pcr_shared_kernelILj256EfEEviiiPKT0_S3_S3_PS1_.num_vgpr, 21
	.set _ZN9rocsparseL30gtsv_nopivot_pcr_shared_kernelILj256EfEEviiiPKT0_S3_S3_PS1_.num_agpr, 0
	.set _ZN9rocsparseL30gtsv_nopivot_pcr_shared_kernelILj256EfEEviiiPKT0_S3_S3_PS1_.numbered_sgpr, 12
	.set _ZN9rocsparseL30gtsv_nopivot_pcr_shared_kernelILj256EfEEviiiPKT0_S3_S3_PS1_.num_named_barrier, 0
	.set _ZN9rocsparseL30gtsv_nopivot_pcr_shared_kernelILj256EfEEviiiPKT0_S3_S3_PS1_.private_seg_size, 0
	.set _ZN9rocsparseL30gtsv_nopivot_pcr_shared_kernelILj256EfEEviiiPKT0_S3_S3_PS1_.uses_vcc, 1
	.set _ZN9rocsparseL30gtsv_nopivot_pcr_shared_kernelILj256EfEEviiiPKT0_S3_S3_PS1_.uses_flat_scratch, 0
	.set _ZN9rocsparseL30gtsv_nopivot_pcr_shared_kernelILj256EfEEviiiPKT0_S3_S3_PS1_.has_dyn_sized_stack, 0
	.set _ZN9rocsparseL30gtsv_nopivot_pcr_shared_kernelILj256EfEEviiiPKT0_S3_S3_PS1_.has_recursion, 0
	.set _ZN9rocsparseL30gtsv_nopivot_pcr_shared_kernelILj256EfEEviiiPKT0_S3_S3_PS1_.has_indirect_call, 0
	.section	.AMDGPU.csdata,"",@progbits
; Kernel info:
; codeLenInByte = 3068
; TotalNumSgprs: 16
; NumVgprs: 21
; ScratchSize: 0
; MemoryBound: 0
; FloatMode: 240
; IeeeMode: 1
; LDSByteSize: 5120 bytes/workgroup (compile time only)
; SGPRBlocks: 1
; VGPRBlocks: 5
; NumSGPRsForWavesPerEU: 16
; NumVGPRsForWavesPerEU: 21
; Occupancy: 10
; WaveLimiterHint : 0
; COMPUTE_PGM_RSRC2:SCRATCH_EN: 0
; COMPUTE_PGM_RSRC2:USER_SGPR: 6
; COMPUTE_PGM_RSRC2:TRAP_HANDLER: 0
; COMPUTE_PGM_RSRC2:TGID_X_EN: 1
; COMPUTE_PGM_RSRC2:TGID_Y_EN: 0
; COMPUTE_PGM_RSRC2:TGID_Z_EN: 0
; COMPUTE_PGM_RSRC2:TIDIG_COMP_CNT: 0
	.section	.text._ZN9rocsparseL30gtsv_nopivot_pcr_shared_kernelILj512EfEEviiiPKT0_S3_S3_PS1_,"axG",@progbits,_ZN9rocsparseL30gtsv_nopivot_pcr_shared_kernelILj512EfEEviiiPKT0_S3_S3_PS1_,comdat
	.globl	_ZN9rocsparseL30gtsv_nopivot_pcr_shared_kernelILj512EfEEviiiPKT0_S3_S3_PS1_ ; -- Begin function _ZN9rocsparseL30gtsv_nopivot_pcr_shared_kernelILj512EfEEviiiPKT0_S3_S3_PS1_
	.p2align	8
	.type	_ZN9rocsparseL30gtsv_nopivot_pcr_shared_kernelILj512EfEEviiiPKT0_S3_S3_PS1_,@function
_ZN9rocsparseL30gtsv_nopivot_pcr_shared_kernelILj512EfEEviiiPKT0_S3_S3_PS1_: ; @_ZN9rocsparseL30gtsv_nopivot_pcr_shared_kernelILj512EfEEviiiPKT0_S3_S3_PS1_
; %bb.0:
	s_load_dword s7, s[4:5], 0x0
	v_mov_b32_e32 v1, 0
	v_lshlrev_b32_e32 v3, 2, v0
	v_mov_b32_e32 v2, 0
	s_waitcnt lgkmcnt(0)
	v_cmp_gt_i32_e64 s[0:1], s7, v0
	s_and_saveexec_b64 s[2:3], s[0:1]
	s_cbranch_execz .LBB16_2
; %bb.1:
	s_load_dwordx2 s[8:9], s[4:5], 0x10
	s_waitcnt lgkmcnt(0)
	global_load_dword v2, v3, s[8:9]
.LBB16_2:
	s_or_b64 exec, exec, s[2:3]
	s_waitcnt vmcnt(0)
	ds_write_b32 v3, v2
	s_and_saveexec_b64 s[2:3], s[0:1]
	s_cbranch_execz .LBB16_4
; %bb.3:
	s_load_dwordx2 s[8:9], s[4:5], 0x18
	s_waitcnt lgkmcnt(0)
	global_load_dword v1, v3, s[8:9]
.LBB16_4:
	s_or_b64 exec, exec, s[2:3]
	s_load_dwordx2 s[8:9], s[4:5], 0x28
	s_waitcnt vmcnt(0)
	ds_write_b32 v3, v1 offset:2048
	v_mov_b32_e32 v2, 0
	v_mov_b32_e32 v1, 0
	s_and_saveexec_b64 s[2:3], s[0:1]
	s_cbranch_execz .LBB16_6
; %bb.5:
	s_load_dwordx2 s[10:11], s[4:5], 0x20
	s_waitcnt lgkmcnt(0)
	global_load_dword v1, v3, s[10:11]
.LBB16_6:
	s_or_b64 exec, exec, s[2:3]
	s_load_dword s2, s[4:5], 0x8
	v_or_b32_e32 v4, 0x800, v3
	v_or_b32_e32 v5, 0x1000, v3
	s_waitcnt vmcnt(0)
	ds_write_b32 v3, v1 offset:4096
	s_waitcnt lgkmcnt(0)
	s_mul_i32 s2, s2, s6
	v_add_u32_e32 v1, s2, v0
	s_and_saveexec_b64 s[2:3], s[0:1]
	s_cbranch_execz .LBB16_8
; %bb.7:
	v_mov_b32_e32 v2, 0
	v_lshlrev_b64 v[6:7], 2, v[1:2]
	v_mov_b32_e32 v2, s9
	v_add_co_u32_e32 v6, vcc, s8, v6
	v_addc_co_u32_e32 v7, vcc, v2, v7, vcc
	global_load_dword v2, v[6:7], off
.LBB16_8:
	s_or_b64 exec, exec, s[2:3]
	s_waitcnt vmcnt(0)
	ds_write_b32 v3, v2 offset:8192
	v_sub_u32_e64 v2, v0, 1 clamp
	v_lshlrev_b32_e32 v2, 2, v2
	s_waitcnt lgkmcnt(0)
	s_barrier
	ds_read2st64_b32 v[6:7], v2 offset1:8
	ds_read_b32 v14, v3
	ds_read_b32 v15, v3 offset:8192
	s_add_i32 s4, s7, -1
	v_add_u32_e32 v8, 1, v0
	v_min_i32_e32 v8, s4, v8
	s_waitcnt lgkmcnt(1)
	v_div_scale_f32 v10, s[2:3], v7, v7, v14
	v_div_scale_f32 v11, vcc, v14, v7, v14
	v_lshlrev_b32_e32 v12, 2, v8
	ds_read_b32 v16, v5
	ds_read_b32 v17, v4
	ds_read2st64_b32 v[8:9], v12 offset1:8
	s_waitcnt lgkmcnt(0)
	v_div_scale_f32 v18, s[2:3], v9, v9, v16
	v_rcp_f32_e32 v13, v10
	v_fma_f32 v19, -v10, v13, 1.0
	v_fmac_f32_e32 v13, v19, v13
	v_mul_f32_e32 v19, v11, v13
	v_fma_f32 v20, -v10, v19, v11
	v_fmac_f32_e32 v19, v20, v13
	v_div_scale_f32 v20, s[2:3], v16, v9, v16
	v_fma_f32 v10, -v10, v19, v11
	v_rcp_f32_e32 v11, v18
	v_div_fmas_f32 v19, v10, v13, v19
	s_mov_b64 vcc, s[2:3]
	v_fma_f32 v10, -v18, v11, 1.0
	v_fmac_f32_e32 v11, v10, v11
	v_mul_f32_e32 v10, v20, v11
	v_fma_f32 v13, -v18, v10, v20
	v_fmac_f32_e32 v10, v13, v11
	v_fma_f32 v13, -v18, v10, v20
	v_div_fmas_f32 v18, v13, v11, v10
	ds_read2st64_b32 v[10:11], v2 offset0:16 offset1:32
	ds_read2st64_b32 v[12:13], v12 offset0:16 offset1:32
	v_div_fixup_f32 v2, v19, v7, v14
	s_waitcnt lgkmcnt(0)
	s_barrier
	v_div_fixup_f32 v7, v18, v9, v16
	v_fma_f32 v9, -v2, v10, v17
	v_fma_f32 v10, -v2, v11, v15
	v_mul_f32_e64 v2, v2, -v6
	v_fma_f32 v6, -v7, v8, v9
	v_fma_f32 v8, -v7, v13, v10
	v_mul_f32_e64 v7, v7, -v12
	ds_write_b32 v4, v6
	ds_write_b32 v3, v8 offset:8192
	ds_write_b32 v3, v2
	ds_write_b32 v5, v7
	v_sub_u32_e64 v2, v0, 2 clamp
	v_lshlrev_b32_e32 v2, 2, v2
	s_waitcnt lgkmcnt(0)
	s_barrier
	ds_read2st64_b32 v[6:7], v2 offset1:8
	ds_read_b32 v12, v3
	ds_read_b32 v14, v3 offset:8192
	v_add_u32_e32 v8, 2, v0
	v_min_i32_e32 v8, s4, v8
	v_lshlrev_b32_e32 v15, 2, v8
	s_waitcnt lgkmcnt(1)
	v_div_scale_f32 v10, s[2:3], v7, v7, v12
	v_div_scale_f32 v11, vcc, v12, v7, v12
	ds_read2st64_b32 v[8:9], v15 offset1:8
	ds_read_b32 v16, v5
	ds_read_b32 v17, v4
	s_waitcnt lgkmcnt(1)
	v_div_scale_f32 v19, s[2:3], v9, v9, v16
	v_rcp_f32_e32 v13, v10
	v_fma_f32 v18, -v10, v13, 1.0
	v_fmac_f32_e32 v13, v18, v13
	v_mul_f32_e32 v18, v11, v13
	v_fma_f32 v20, -v10, v18, v11
	v_fmac_f32_e32 v18, v20, v13
	v_div_scale_f32 v20, s[2:3], v16, v9, v16
	v_fma_f32 v10, -v10, v18, v11
	v_rcp_f32_e32 v11, v19
	v_div_fmas_f32 v13, v10, v13, v18
	s_mov_b64 vcc, s[2:3]
	v_fma_f32 v10, -v19, v11, 1.0
	v_fmac_f32_e32 v11, v10, v11
	v_mul_f32_e32 v10, v20, v11
	v_fma_f32 v18, -v19, v10, v20
	v_fmac_f32_e32 v10, v18, v11
	v_fma_f32 v18, -v19, v10, v20
	v_div_fmas_f32 v18, v18, v11, v10
	ds_read2st64_b32 v[10:11], v2 offset0:16 offset1:32
	v_div_fixup_f32 v2, v13, v7, v12
	ds_read2st64_b32 v[12:13], v15 offset0:16 offset1:32
	s_waitcnt lgkmcnt(0)
	s_barrier
	v_div_fixup_f32 v7, v18, v9, v16
	v_fma_f32 v9, -v2, v10, v17
	v_fma_f32 v8, -v7, v8, v9
	v_fma_f32 v9, -v2, v11, v14
	v_mul_f32_e64 v2, v2, -v6
	v_fma_f32 v9, -v7, v13, v9
	v_mul_f32_e64 v6, v7, -v12
	ds_write_b32 v4, v8
	ds_write_b32 v3, v9 offset:8192
	ds_write_b32 v3, v2
	ds_write_b32 v5, v6
	v_sub_u32_e64 v2, v0, 4 clamp
	v_lshlrev_b32_e32 v2, 2, v2
	s_waitcnt lgkmcnt(0)
	s_barrier
	ds_read2st64_b32 v[6:7], v2 offset1:8
	ds_read_b32 v12, v3
	ds_read_b32 v14, v3 offset:8192
	v_add_u32_e32 v8, 4, v0
	v_min_i32_e32 v8, s4, v8
	v_lshlrev_b32_e32 v15, 2, v8
	s_waitcnt lgkmcnt(1)
	v_div_scale_f32 v10, s[2:3], v7, v7, v12
	v_div_scale_f32 v11, vcc, v12, v7, v12
	ds_read2st64_b32 v[8:9], v15 offset1:8
	ds_read_b32 v16, v5
	ds_read_b32 v17, v4
	s_waitcnt lgkmcnt(1)
	v_div_scale_f32 v19, s[2:3], v9, v9, v16
	v_rcp_f32_e32 v13, v10
	v_fma_f32 v18, -v10, v13, 1.0
	v_fmac_f32_e32 v13, v18, v13
	v_mul_f32_e32 v18, v11, v13
	v_fma_f32 v20, -v10, v18, v11
	v_fmac_f32_e32 v18, v20, v13
	v_div_scale_f32 v20, s[2:3], v16, v9, v16
	v_fma_f32 v10, -v10, v18, v11
	v_rcp_f32_e32 v11, v19
	v_div_fmas_f32 v13, v10, v13, v18
	s_mov_b64 vcc, s[2:3]
	v_fma_f32 v10, -v19, v11, 1.0
	v_fmac_f32_e32 v11, v10, v11
	v_mul_f32_e32 v10, v20, v11
	v_fma_f32 v18, -v19, v10, v20
	v_fmac_f32_e32 v10, v18, v11
	v_fma_f32 v18, -v19, v10, v20
	v_div_fmas_f32 v18, v18, v11, v10
	ds_read2st64_b32 v[10:11], v2 offset0:16 offset1:32
	v_div_fixup_f32 v2, v13, v7, v12
	ds_read2st64_b32 v[12:13], v15 offset0:16 offset1:32
	s_waitcnt lgkmcnt(0)
	s_barrier
	v_div_fixup_f32 v7, v18, v9, v16
	v_fma_f32 v9, -v2, v10, v17
	v_fma_f32 v8, -v7, v8, v9
	v_fma_f32 v9, -v2, v11, v14
	v_mul_f32_e64 v2, v2, -v6
	;; [unrolled: 52-line block ×5, first 2 shown]
	v_fma_f32 v9, -v7, v13, v9
	v_mul_f32_e64 v6, v7, -v12
	ds_write_b32 v4, v8
	ds_write_b32 v3, v9 offset:8192
	ds_write_b32 v3, v2
	ds_write_b32 v5, v6
	v_sub_u32_e64 v2, v0, 64 clamp
	v_lshlrev_b32_e32 v2, 2, v2
	s_waitcnt lgkmcnt(0)
	s_barrier
	ds_read2st64_b32 v[6:7], v2 offset1:8
	ds_read_b32 v12, v3
	ds_read_b32 v14, v3 offset:8192
	v_add_u32_e32 v8, 64, v0
	v_min_i32_e32 v8, s4, v8
	v_lshlrev_b32_e32 v15, 2, v8
	s_waitcnt lgkmcnt(1)
	v_div_scale_f32 v10, s[2:3], v7, v7, v12
	v_div_scale_f32 v11, vcc, v12, v7, v12
	ds_read2st64_b32 v[8:9], v15 offset1:8
	ds_read_b32 v16, v5
	ds_read_b32 v17, v4
	s_waitcnt lgkmcnt(1)
	v_div_scale_f32 v19, s[2:3], v9, v9, v16
	v_rcp_f32_e32 v13, v10
	v_fma_f32 v18, -v10, v13, 1.0
	v_fmac_f32_e32 v13, v18, v13
	v_mul_f32_e32 v18, v11, v13
	v_fma_f32 v20, -v10, v18, v11
	v_fmac_f32_e32 v18, v20, v13
	v_div_scale_f32 v20, s[2:3], v16, v9, v16
	v_fma_f32 v10, -v10, v18, v11
	v_rcp_f32_e32 v11, v19
	v_div_fmas_f32 v13, v10, v13, v18
	s_mov_b64 vcc, s[2:3]
	s_movk_i32 s2, 0x80
	v_fma_f32 v10, -v19, v11, 1.0
	v_fmac_f32_e32 v11, v10, v11
	v_mul_f32_e32 v10, v20, v11
	v_fma_f32 v18, -v19, v10, v20
	v_fmac_f32_e32 v10, v18, v11
	v_fma_f32 v18, -v19, v10, v20
	v_div_fmas_f32 v18, v18, v11, v10
	ds_read2st64_b32 v[10:11], v2 offset0:16 offset1:32
	v_div_fixup_f32 v2, v13, v7, v12
	ds_read2st64_b32 v[12:13], v15 offset0:16 offset1:32
	s_waitcnt lgkmcnt(0)
	s_barrier
	v_div_fixup_f32 v7, v18, v9, v16
	v_fma_f32 v9, -v2, v10, v17
	v_fma_f32 v8, -v7, v8, v9
	;; [unrolled: 1-line block ×3, first 2 shown]
	v_mul_f32_e64 v2, v2, -v6
	v_fma_f32 v9, -v7, v13, v9
	v_mul_f32_e64 v6, v7, -v12
	ds_write_b32 v4, v8
	ds_write_b32 v3, v9 offset:8192
	ds_write_b32 v3, v2
	ds_write_b32 v5, v6
	v_sub_u32_e64 v2, v0, s2 clamp
	v_lshlrev_b32_e32 v2, 2, v2
	s_waitcnt lgkmcnt(0)
	s_barrier
	ds_read2st64_b32 v[6:7], v2 offset1:8
	ds_read_b32 v12, v3
	ds_read_b32 v14, v3 offset:8192
	v_add_u32_e32 v8, 0x80, v0
	v_min_i32_e32 v8, s4, v8
	v_lshlrev_b32_e32 v15, 2, v8
	s_waitcnt lgkmcnt(1)
	v_div_scale_f32 v10, s[2:3], v7, v7, v12
	v_div_scale_f32 v11, vcc, v12, v7, v12
	ds_read2st64_b32 v[8:9], v15 offset1:8
	ds_read_b32 v16, v5
	ds_read_b32 v17, v4
	s_waitcnt lgkmcnt(1)
	v_div_scale_f32 v19, s[2:3], v9, v9, v16
	v_rcp_f32_e32 v13, v10
	v_fma_f32 v18, -v10, v13, 1.0
	v_fmac_f32_e32 v13, v18, v13
	v_mul_f32_e32 v18, v11, v13
	v_fma_f32 v20, -v10, v18, v11
	v_fmac_f32_e32 v18, v20, v13
	v_div_scale_f32 v20, s[2:3], v16, v9, v16
	v_fma_f32 v10, -v10, v18, v11
	v_rcp_f32_e32 v11, v19
	v_div_fmas_f32 v13, v10, v13, v18
	s_mov_b64 vcc, s[2:3]
	s_movk_i32 s2, 0x100
	v_fma_f32 v10, -v19, v11, 1.0
	v_fmac_f32_e32 v11, v10, v11
	v_mul_f32_e32 v10, v20, v11
	v_fma_f32 v18, -v19, v10, v20
	v_fmac_f32_e32 v10, v18, v11
	v_fma_f32 v18, -v19, v10, v20
	v_div_fmas_f32 v18, v18, v11, v10
	ds_read2st64_b32 v[10:11], v2 offset0:16 offset1:32
	v_div_fixup_f32 v2, v13, v7, v12
	ds_read2st64_b32 v[12:13], v15 offset0:16 offset1:32
	v_cmp_gt_u32_e32 vcc, s2, v0
	s_waitcnt lgkmcnt(0)
	s_barrier
	v_div_fixup_f32 v7, v18, v9, v16
	v_fma_f32 v9, -v2, v10, v17
	v_fma_f32 v8, -v7, v8, v9
	;; [unrolled: 1-line block ×4, first 2 shown]
	v_mul_f32_e64 v2, v2, -v6
	v_mul_f32_e64 v6, v7, -v12
	ds_write_b32 v4, v8
	ds_write_b32 v3, v9 offset:8192
	ds_write_b32 v3, v2
	ds_write_b32 v5, v6
	s_waitcnt lgkmcnt(0)
	s_barrier
	s_and_saveexec_b64 s[2:3], vcc
	s_cbranch_execz .LBB16_14
; %bb.9:
	v_or_b32_e32 v2, 0x100, v0
	v_or_b32_e32 v6, 0x2000, v3
	v_cmp_le_i32_e32 vcc, s7, v2
                                        ; implicit-def: $vgpr7
	s_and_saveexec_b64 s[4:5], vcc
	s_xor_b64 s[4:5], exec, s[4:5]
	s_cbranch_execz .LBB16_11
; %bb.10:
	ds_read_b32 v2, v6
	ds_read_b32 v4, v4
	s_waitcnt lgkmcnt(0)
	v_div_scale_f32 v5, s[6:7], v4, v4, v2
	v_div_scale_f32 v6, vcc, v2, v4, v2
	v_rcp_f32_e32 v7, v5
	v_fma_f32 v8, -v5, v7, 1.0
	v_fmac_f32_e32 v7, v8, v7
	v_mul_f32_e32 v8, v6, v7
	v_fma_f32 v9, -v5, v8, v6
	v_fmac_f32_e32 v8, v9, v7
	v_fma_f32 v5, -v5, v8, v6
	v_div_fmas_f32 v5, v5, v7, v8
                                        ; implicit-def: $vgpr6
	v_div_fixup_f32 v7, v5, v4, v2
                                        ; implicit-def: $vgpr4
                                        ; implicit-def: $vgpr5
                                        ; implicit-def: $vgpr2
.LBB16_11:
	s_andn2_saveexec_b64 s[4:5], s[4:5]
	s_cbranch_execz .LBB16_13
; %bb.12:
	ds_read_b32 v0, v5
	ds_read_b32 v8, v3 offset:1024
	ds_read2st64_b32 v[4:5], v4 offset1:4
	s_waitcnt lgkmcnt(1)
	v_mul_f32_e32 v7, v0, v8
	s_waitcnt lgkmcnt(0)
	v_fma_f32 v9, v5, v4, -v7
	v_div_scale_f32 v7, s[6:7], v9, v9, 1.0
	v_div_scale_f32 v10, vcc, 1.0, v9, 1.0
	v_rcp_f32_e32 v11, v7
	v_fma_f32 v12, -v7, v11, 1.0
	v_fmac_f32_e32 v11, v12, v11
	v_mul_f32_e32 v12, v10, v11
	v_fma_f32 v13, -v7, v12, v10
	v_fmac_f32_e32 v12, v13, v11
	v_fma_f32 v7, -v7, v12, v10
	v_div_fmas_f32 v10, v7, v11, v12
	ds_read2st64_b32 v[6:7], v6 offset1:4
	s_waitcnt lgkmcnt(0)
	v_mul_f32_e32 v0, v0, v7
	v_mul_f32_e32 v8, v8, v6
	v_fma_f32 v0, v5, v6, -v0
	v_fma_f32 v4, v4, v7, -v8
	v_div_fixup_f32 v5, v10, v9, 1.0
	v_mul_f32_e32 v0, v5, v0
	v_mul_f32_e32 v7, v5, v4
	ds_write_b32 v3, v0 offset:6144
	v_mov_b32_e32 v0, v2
.LBB16_13:
	s_or_b64 exec, exec, s[4:5]
	v_lshlrev_b32_e32 v0, 2, v0
	ds_write_b32 v0, v7 offset:6144
.LBB16_14:
	s_or_b64 exec, exec, s[2:3]
	s_waitcnt lgkmcnt(0)
	s_barrier
	s_and_saveexec_b64 s[2:3], s[0:1]
	s_cbranch_execz .LBB16_16
; %bb.15:
	v_mov_b32_e32 v2, 0
	ds_read_b32 v3, v3 offset:6144
	v_lshlrev_b64 v[0:1], 2, v[1:2]
	v_mov_b32_e32 v2, s9
	v_add_co_u32_e32 v0, vcc, s8, v0
	v_addc_co_u32_e32 v1, vcc, v2, v1, vcc
	s_waitcnt lgkmcnt(0)
	global_store_dword v[0:1], v3, off
.LBB16_16:
	s_endpgm
	.section	.rodata,"a",@progbits
	.p2align	6, 0x0
	.amdhsa_kernel _ZN9rocsparseL30gtsv_nopivot_pcr_shared_kernelILj512EfEEviiiPKT0_S3_S3_PS1_
		.amdhsa_group_segment_fixed_size 10240
		.amdhsa_private_segment_fixed_size 0
		.amdhsa_kernarg_size 48
		.amdhsa_user_sgpr_count 6
		.amdhsa_user_sgpr_private_segment_buffer 1
		.amdhsa_user_sgpr_dispatch_ptr 0
		.amdhsa_user_sgpr_queue_ptr 0
		.amdhsa_user_sgpr_kernarg_segment_ptr 1
		.amdhsa_user_sgpr_dispatch_id 0
		.amdhsa_user_sgpr_flat_scratch_init 0
		.amdhsa_user_sgpr_private_segment_size 0
		.amdhsa_uses_dynamic_stack 0
		.amdhsa_system_sgpr_private_segment_wavefront_offset 0
		.amdhsa_system_sgpr_workgroup_id_x 1
		.amdhsa_system_sgpr_workgroup_id_y 0
		.amdhsa_system_sgpr_workgroup_id_z 0
		.amdhsa_system_sgpr_workgroup_info 0
		.amdhsa_system_vgpr_workitem_id 0
		.amdhsa_next_free_vgpr 21
		.amdhsa_next_free_sgpr 12
		.amdhsa_reserve_vcc 1
		.amdhsa_reserve_flat_scratch 0
		.amdhsa_float_round_mode_32 0
		.amdhsa_float_round_mode_16_64 0
		.amdhsa_float_denorm_mode_32 3
		.amdhsa_float_denorm_mode_16_64 3
		.amdhsa_dx10_clamp 1
		.amdhsa_ieee_mode 1
		.amdhsa_fp16_overflow 0
		.amdhsa_exception_fp_ieee_invalid_op 0
		.amdhsa_exception_fp_denorm_src 0
		.amdhsa_exception_fp_ieee_div_zero 0
		.amdhsa_exception_fp_ieee_overflow 0
		.amdhsa_exception_fp_ieee_underflow 0
		.amdhsa_exception_fp_ieee_inexact 0
		.amdhsa_exception_int_div_zero 0
	.end_amdhsa_kernel
	.section	.text._ZN9rocsparseL30gtsv_nopivot_pcr_shared_kernelILj512EfEEviiiPKT0_S3_S3_PS1_,"axG",@progbits,_ZN9rocsparseL30gtsv_nopivot_pcr_shared_kernelILj512EfEEviiiPKT0_S3_S3_PS1_,comdat
.Lfunc_end16:
	.size	_ZN9rocsparseL30gtsv_nopivot_pcr_shared_kernelILj512EfEEviiiPKT0_S3_S3_PS1_, .Lfunc_end16-_ZN9rocsparseL30gtsv_nopivot_pcr_shared_kernelILj512EfEEviiiPKT0_S3_S3_PS1_
                                        ; -- End function
	.set _ZN9rocsparseL30gtsv_nopivot_pcr_shared_kernelILj512EfEEviiiPKT0_S3_S3_PS1_.num_vgpr, 21
	.set _ZN9rocsparseL30gtsv_nopivot_pcr_shared_kernelILj512EfEEviiiPKT0_S3_S3_PS1_.num_agpr, 0
	.set _ZN9rocsparseL30gtsv_nopivot_pcr_shared_kernelILj512EfEEviiiPKT0_S3_S3_PS1_.numbered_sgpr, 12
	.set _ZN9rocsparseL30gtsv_nopivot_pcr_shared_kernelILj512EfEEviiiPKT0_S3_S3_PS1_.num_named_barrier, 0
	.set _ZN9rocsparseL30gtsv_nopivot_pcr_shared_kernelILj512EfEEviiiPKT0_S3_S3_PS1_.private_seg_size, 0
	.set _ZN9rocsparseL30gtsv_nopivot_pcr_shared_kernelILj512EfEEviiiPKT0_S3_S3_PS1_.uses_vcc, 1
	.set _ZN9rocsparseL30gtsv_nopivot_pcr_shared_kernelILj512EfEEviiiPKT0_S3_S3_PS1_.uses_flat_scratch, 0
	.set _ZN9rocsparseL30gtsv_nopivot_pcr_shared_kernelILj512EfEEviiiPKT0_S3_S3_PS1_.has_dyn_sized_stack, 0
	.set _ZN9rocsparseL30gtsv_nopivot_pcr_shared_kernelILj512EfEEviiiPKT0_S3_S3_PS1_.has_recursion, 0
	.set _ZN9rocsparseL30gtsv_nopivot_pcr_shared_kernelILj512EfEEviiiPKT0_S3_S3_PS1_.has_indirect_call, 0
	.section	.AMDGPU.csdata,"",@progbits
; Kernel info:
; codeLenInByte = 3416
; TotalNumSgprs: 16
; NumVgprs: 21
; ScratchSize: 0
; MemoryBound: 0
; FloatMode: 240
; IeeeMode: 1
; LDSByteSize: 10240 bytes/workgroup (compile time only)
; SGPRBlocks: 1
; VGPRBlocks: 5
; NumSGPRsForWavesPerEU: 16
; NumVGPRsForWavesPerEU: 21
; Occupancy: 10
; WaveLimiterHint : 0
; COMPUTE_PGM_RSRC2:SCRATCH_EN: 0
; COMPUTE_PGM_RSRC2:USER_SGPR: 6
; COMPUTE_PGM_RSRC2:TRAP_HANDLER: 0
; COMPUTE_PGM_RSRC2:TGID_X_EN: 1
; COMPUTE_PGM_RSRC2:TGID_Y_EN: 0
; COMPUTE_PGM_RSRC2:TGID_Z_EN: 0
; COMPUTE_PGM_RSRC2:TIDIG_COMP_CNT: 0
	.section	.text._ZN9rocsparseL37gtsv_nopivot_pcr_pow2_stage1_n_kernelILj256EfEEviiiiPKT0_S3_S3_S3_PS1_S4_S4_S4_,"axG",@progbits,_ZN9rocsparseL37gtsv_nopivot_pcr_pow2_stage1_n_kernelILj256EfEEviiiiPKT0_S3_S3_S3_PS1_S4_S4_S4_,comdat
	.globl	_ZN9rocsparseL37gtsv_nopivot_pcr_pow2_stage1_n_kernelILj256EfEEviiiiPKT0_S3_S3_S3_PS1_S4_S4_S4_ ; -- Begin function _ZN9rocsparseL37gtsv_nopivot_pcr_pow2_stage1_n_kernelILj256EfEEviiiiPKT0_S3_S3_S3_PS1_S4_S4_S4_
	.p2align	8
	.type	_ZN9rocsparseL37gtsv_nopivot_pcr_pow2_stage1_n_kernelILj256EfEEviiiiPKT0_S3_S3_S3_PS1_S4_S4_S4_,@function
_ZN9rocsparseL37gtsv_nopivot_pcr_pow2_stage1_n_kernelILj256EfEEviiiiPKT0_S3_S3_S3_PS1_S4_S4_S4_: ; @_ZN9rocsparseL37gtsv_nopivot_pcr_pow2_stage1_n_kernelILj256EfEEviiiiPKT0_S3_S3_S3_PS1_S4_S4_S4_
; %bb.0:
	s_load_dwordx2 s[0:1], s[4:5], 0x0
	s_load_dword s24, s[4:5], 0xc
	s_load_dwordx8 s[16:23], s[4:5], 0x10
	v_lshl_or_b32 v0, s6, 8, v0
	s_load_dwordx8 s[8:15], s[4:5], 0x30
	s_waitcnt lgkmcnt(0)
	v_add_u32_e32 v1, s0, v0
	s_add_i32 s2, s1, -1
	v_min_i32_e32 v2, s2, v1
	v_subrev_u32_e32 v1, s0, v0
	v_max_i32_e32 v3, 0, v1
	v_ashrrev_i32_e32 v1, 31, v0
	v_lshlrev_b64 v[0:1], 2, v[0:1]
	v_mov_b32_e32 v8, s17
	v_add_co_u32_e32 v4, vcc, s16, v0
	v_addc_co_u32_e32 v5, vcc, v8, v1, vcc
	global_load_dword v9, v[4:5], off
	v_mov_b32_e32 v4, 0
	v_lshlrev_b64 v[4:5], 2, v[3:4]
	v_mov_b32_e32 v10, s19
	v_add_co_u32_e32 v6, vcc, s18, v4
	v_addc_co_u32_e32 v7, vcc, v10, v5, vcc
	v_ashrrev_i32_e32 v3, 31, v2
	global_load_dword v11, v[6:7], off
	v_mov_b32_e32 v12, s21
	v_add_co_u32_e32 v6, vcc, s20, v0
	v_lshlrev_b64 v[2:3], 2, v[2:3]
	v_addc_co_u32_e32 v7, vcc, v12, v1, vcc
	global_load_dword v13, v[6:7], off
	v_add_co_u32_e32 v6, vcc, s18, v2
	v_addc_co_u32_e32 v7, vcc, v10, v3, vcc
	global_load_dword v14, v[6:7], off
	v_add_co_u32_e32 v6, vcc, s16, v4
	;; [unrolled: 3-line block ×3, first 2 shown]
	v_addc_co_u32_e32 v7, vcc, v12, v3, vcc
	s_mul_i32 s0, s1, s7
	s_mov_b32 s1, 0
	global_load_dword v16, v[6:7], off
	v_add_co_u32_e32 v6, vcc, s18, v0
	s_lshl_b64 s[2:3], s[0:1], 2
	v_addc_co_u32_e32 v7, vcc, v10, v1, vcc
	s_add_u32 s2, s14, s2
	s_mul_i32 s0, s24, s7
	global_load_dword v10, v[6:7], off
	v_add_co_u32_e32 v6, vcc, s20, v4
	s_addc_u32 s3, s15, s3
	s_lshl_b64 s[0:1], s[0:1], 2
	v_addc_co_u32_e32 v7, vcc, v12, v5, vcc
	s_add_u32 s0, s22, s0
	global_load_dword v12, v[6:7], off
	v_add_co_u32_e32 v6, vcc, s16, v2
	s_addc_u32 s1, s23, s1
	v_addc_co_u32_e32 v7, vcc, v8, v3, vcc
	global_load_dword v8, v[6:7], off
	v_mov_b32_e32 v6, s1
	v_add_co_u32_e32 v2, vcc, s0, v2
	v_addc_co_u32_e32 v3, vcc, v6, v3, vcc
	v_add_co_u32_e32 v4, vcc, s0, v4
	v_addc_co_u32_e32 v5, vcc, v6, v5, vcc
	v_mov_b32_e32 v7, s1
	v_add_co_u32_e32 v6, vcc, s0, v0
	v_addc_co_u32_e32 v7, vcc, v7, v1, vcc
	global_load_dword v17, v[2:3], off
	global_load_dword v18, v[4:5], off
	;; [unrolled: 1-line block ×3, first 2 shown]
	s_waitcnt vmcnt(10)
	v_div_scale_f32 v2, s[0:1], v11, v11, v9
	v_div_scale_f32 v4, vcc, v9, v11, v9
	s_waitcnt vmcnt(8)
	v_div_scale_f32 v3, s[0:1], v14, v14, v13
	v_rcp_f32_e32 v5, v2
	v_fma_f32 v7, -v2, v5, 1.0
	v_fmac_f32_e32 v5, v7, v5
	v_rcp_f32_e32 v6, v3
	v_fma_f32 v7, -v3, v6, 1.0
	v_fmac_f32_e32 v6, v7, v6
	v_mul_f32_e32 v7, v4, v5
	v_fma_f32 v20, -v2, v7, v4
	v_fmac_f32_e32 v7, v20, v5
	v_fma_f32 v2, -v2, v7, v4
	v_div_scale_f32 v4, s[0:1], v13, v14, v13
	v_div_fmas_f32 v7, v2, v5, v7
	s_mov_b64 vcc, s[0:1]
	v_mul_f32_e32 v2, v4, v6
	v_fma_f32 v5, -v3, v2, v4
	v_fmac_f32_e32 v2, v5, v6
	v_fma_f32 v3, -v3, v2, v4
	v_div_fmas_f32 v6, v3, v6, v2
	v_mov_b32_e32 v3, s11
	v_add_co_u32_e32 v2, vcc, s10, v0
	v_addc_co_u32_e32 v3, vcc, v3, v1, vcc
	v_div_fixup_f32 v7, v7, v11, v9
	v_mov_b32_e32 v5, s9
	v_add_co_u32_e32 v4, vcc, s8, v0
	s_waitcnt vmcnt(4)
	v_fma_f32 v9, -v7, v12, v10
	v_addc_co_u32_e32 v5, vcc, v5, v1, vcc
	v_mul_f32_e64 v10, v7, -v15
	v_div_fixup_f32 v6, v6, v14, v13
	s_waitcnt vmcnt(3)
	v_fma_f32 v8, -v6, v8, v9
	global_store_dword v[2:3], v8, off
	global_store_dword v[4:5], v10, off
	v_mov_b32_e32 v3, s13
	v_add_co_u32_e32 v2, vcc, s12, v0
	v_mul_f32_e64 v4, v6, -v16
	v_addc_co_u32_e32 v3, vcc, v3, v1, vcc
	global_store_dword v[2:3], v4, off
	s_waitcnt vmcnt(3)
	v_fma_f32 v2, -v7, v18, v19
	v_mov_b32_e32 v3, s3
	v_add_co_u32_e32 v0, vcc, s2, v0
	v_fma_f32 v2, -v6, v17, v2
	v_addc_co_u32_e32 v1, vcc, v3, v1, vcc
	global_store_dword v[0:1], v2, off
	s_endpgm
	.section	.rodata,"a",@progbits
	.p2align	6, 0x0
	.amdhsa_kernel _ZN9rocsparseL37gtsv_nopivot_pcr_pow2_stage1_n_kernelILj256EfEEviiiiPKT0_S3_S3_S3_PS1_S4_S4_S4_
		.amdhsa_group_segment_fixed_size 0
		.amdhsa_private_segment_fixed_size 0
		.amdhsa_kernarg_size 80
		.amdhsa_user_sgpr_count 6
		.amdhsa_user_sgpr_private_segment_buffer 1
		.amdhsa_user_sgpr_dispatch_ptr 0
		.amdhsa_user_sgpr_queue_ptr 0
		.amdhsa_user_sgpr_kernarg_segment_ptr 1
		.amdhsa_user_sgpr_dispatch_id 0
		.amdhsa_user_sgpr_flat_scratch_init 0
		.amdhsa_user_sgpr_private_segment_size 0
		.amdhsa_uses_dynamic_stack 0
		.amdhsa_system_sgpr_private_segment_wavefront_offset 0
		.amdhsa_system_sgpr_workgroup_id_x 1
		.amdhsa_system_sgpr_workgroup_id_y 1
		.amdhsa_system_sgpr_workgroup_id_z 0
		.amdhsa_system_sgpr_workgroup_info 0
		.amdhsa_system_vgpr_workitem_id 0
		.amdhsa_next_free_vgpr 21
		.amdhsa_next_free_sgpr 25
		.amdhsa_reserve_vcc 1
		.amdhsa_reserve_flat_scratch 0
		.amdhsa_float_round_mode_32 0
		.amdhsa_float_round_mode_16_64 0
		.amdhsa_float_denorm_mode_32 3
		.amdhsa_float_denorm_mode_16_64 3
		.amdhsa_dx10_clamp 1
		.amdhsa_ieee_mode 1
		.amdhsa_fp16_overflow 0
		.amdhsa_exception_fp_ieee_invalid_op 0
		.amdhsa_exception_fp_denorm_src 0
		.amdhsa_exception_fp_ieee_div_zero 0
		.amdhsa_exception_fp_ieee_overflow 0
		.amdhsa_exception_fp_ieee_underflow 0
		.amdhsa_exception_fp_ieee_inexact 0
		.amdhsa_exception_int_div_zero 0
	.end_amdhsa_kernel
	.section	.text._ZN9rocsparseL37gtsv_nopivot_pcr_pow2_stage1_n_kernelILj256EfEEviiiiPKT0_S3_S3_S3_PS1_S4_S4_S4_,"axG",@progbits,_ZN9rocsparseL37gtsv_nopivot_pcr_pow2_stage1_n_kernelILj256EfEEviiiiPKT0_S3_S3_S3_PS1_S4_S4_S4_,comdat
.Lfunc_end17:
	.size	_ZN9rocsparseL37gtsv_nopivot_pcr_pow2_stage1_n_kernelILj256EfEEviiiiPKT0_S3_S3_S3_PS1_S4_S4_S4_, .Lfunc_end17-_ZN9rocsparseL37gtsv_nopivot_pcr_pow2_stage1_n_kernelILj256EfEEviiiiPKT0_S3_S3_S3_PS1_S4_S4_S4_
                                        ; -- End function
	.set _ZN9rocsparseL37gtsv_nopivot_pcr_pow2_stage1_n_kernelILj256EfEEviiiiPKT0_S3_S3_S3_PS1_S4_S4_S4_.num_vgpr, 21
	.set _ZN9rocsparseL37gtsv_nopivot_pcr_pow2_stage1_n_kernelILj256EfEEviiiiPKT0_S3_S3_S3_PS1_S4_S4_S4_.num_agpr, 0
	.set _ZN9rocsparseL37gtsv_nopivot_pcr_pow2_stage1_n_kernelILj256EfEEviiiiPKT0_S3_S3_S3_PS1_S4_S4_S4_.numbered_sgpr, 25
	.set _ZN9rocsparseL37gtsv_nopivot_pcr_pow2_stage1_n_kernelILj256EfEEviiiiPKT0_S3_S3_S3_PS1_S4_S4_S4_.num_named_barrier, 0
	.set _ZN9rocsparseL37gtsv_nopivot_pcr_pow2_stage1_n_kernelILj256EfEEviiiiPKT0_S3_S3_S3_PS1_S4_S4_S4_.private_seg_size, 0
	.set _ZN9rocsparseL37gtsv_nopivot_pcr_pow2_stage1_n_kernelILj256EfEEviiiiPKT0_S3_S3_S3_PS1_S4_S4_S4_.uses_vcc, 1
	.set _ZN9rocsparseL37gtsv_nopivot_pcr_pow2_stage1_n_kernelILj256EfEEviiiiPKT0_S3_S3_S3_PS1_S4_S4_S4_.uses_flat_scratch, 0
	.set _ZN9rocsparseL37gtsv_nopivot_pcr_pow2_stage1_n_kernelILj256EfEEviiiiPKT0_S3_S3_S3_PS1_S4_S4_S4_.has_dyn_sized_stack, 0
	.set _ZN9rocsparseL37gtsv_nopivot_pcr_pow2_stage1_n_kernelILj256EfEEviiiiPKT0_S3_S3_S3_PS1_S4_S4_S4_.has_recursion, 0
	.set _ZN9rocsparseL37gtsv_nopivot_pcr_pow2_stage1_n_kernelILj256EfEEviiiiPKT0_S3_S3_S3_PS1_S4_S4_S4_.has_indirect_call, 0
	.section	.AMDGPU.csdata,"",@progbits
; Kernel info:
; codeLenInByte = 648
; TotalNumSgprs: 29
; NumVgprs: 21
; ScratchSize: 0
; MemoryBound: 0
; FloatMode: 240
; IeeeMode: 1
; LDSByteSize: 0 bytes/workgroup (compile time only)
; SGPRBlocks: 3
; VGPRBlocks: 5
; NumSGPRsForWavesPerEU: 29
; NumVGPRsForWavesPerEU: 21
; Occupancy: 10
; WaveLimiterHint : 0
; COMPUTE_PGM_RSRC2:SCRATCH_EN: 0
; COMPUTE_PGM_RSRC2:USER_SGPR: 6
; COMPUTE_PGM_RSRC2:TRAP_HANDLER: 0
; COMPUTE_PGM_RSRC2:TGID_X_EN: 1
; COMPUTE_PGM_RSRC2:TGID_Y_EN: 1
; COMPUTE_PGM_RSRC2:TGID_Z_EN: 0
; COMPUTE_PGM_RSRC2:TIDIG_COMP_CNT: 0
	.section	.text._ZN9rocsparseL34gtsv_nopivot_cr_pow2_stage2_kernelILj256EfEEviiiPKT0_S3_S3_S3_PS1_,"axG",@progbits,_ZN9rocsparseL34gtsv_nopivot_cr_pow2_stage2_kernelILj256EfEEviiiPKT0_S3_S3_S3_PS1_,comdat
	.globl	_ZN9rocsparseL34gtsv_nopivot_cr_pow2_stage2_kernelILj256EfEEviiiPKT0_S3_S3_S3_PS1_ ; -- Begin function _ZN9rocsparseL34gtsv_nopivot_cr_pow2_stage2_kernelILj256EfEEviiiPKT0_S3_S3_S3_PS1_
	.p2align	8
	.type	_ZN9rocsparseL34gtsv_nopivot_cr_pow2_stage2_kernelILj256EfEEviiiPKT0_S3_S3_S3_PS1_,@function
_ZN9rocsparseL34gtsv_nopivot_cr_pow2_stage2_kernelILj256EfEEviiiPKT0_S3_S3_S3_PS1_: ; @_ZN9rocsparseL34gtsv_nopivot_cr_pow2_stage2_kernelILj256EfEEviiiPKT0_S3_S3_S3_PS1_
; %bb.0:
	s_load_dword s0, s[4:5], 0x38
	s_load_dwordx8 s[8:15], s[4:5], 0x10
	v_mov_b32_e32 v2, 0
	s_load_dword s1, s[4:5], 0x0
	s_waitcnt lgkmcnt(0)
	v_mul_lo_u32 v1, s0, v0
	v_mov_b32_e32 v7, s9
	v_mov_b32_e32 v9, s11
	;; [unrolled: 1-line block ×3, first 2 shown]
	v_add_u32_e32 v1, s6, v1
	v_lshlrev_b64 v[3:4], 2, v[1:2]
	s_mul_i32 s1, s1, s7
	v_add_co_u32_e32 v5, vcc, s8, v3
	v_addc_co_u32_e32 v6, vcc, v7, v4, vcc
	global_load_dword v8, v[5:6], off
	v_add_co_u32_e32 v5, vcc, s10, v3
	v_addc_co_u32_e32 v6, vcc, v9, v4, vcc
	v_add_co_u32_e32 v3, vcc, s12, v3
	v_addc_co_u32_e32 v4, vcc, v11, v4, vcc
	global_load_dword v12, v[3:4], off
	v_add_u32_e32 v3, s1, v1
	v_mov_b32_e32 v4, v2
	v_lshlrev_b64 v[3:4], 2, v[3:4]
	v_mov_b32_e32 v13, s15
	v_add_co_u32_e32 v3, vcc, s14, v3
	v_addc_co_u32_e32 v4, vcc, v13, v4, vcc
	global_load_dword v14, v[3:4], off
	v_lshl_add_u32 v3, s0, 8, v1
	v_mov_b32_e32 v4, v2
	global_load_dword v10, v[5:6], off
	v_lshlrev_b64 v[4:5], 2, v[3:4]
	s_movk_i32 s0, 0x100
	v_add_co_u32_e32 v6, vcc, s8, v4
	v_addc_co_u32_e32 v7, vcc, v7, v5, vcc
	global_load_dword v15, v[6:7], off
	v_add_co_u32_e32 v6, vcc, s10, v4
	v_addc_co_u32_e32 v7, vcc, v9, v5, vcc
	v_add_co_u32_e32 v4, vcc, s12, v4
	v_addc_co_u32_e32 v5, vcc, v11, v5, vcc
	global_load_dword v6, v[6:7], off
	s_nop 0
	global_load_dword v7, v[4:5], off
	v_add_u32_e32 v4, s1, v3
	v_mov_b32_e32 v5, v2
	v_lshlrev_b64 v[4:5], 2, v[4:5]
	v_cmp_gt_u32_e64 s[0:1], s0, v0
	v_add_co_u32_e32 v4, vcc, s14, v4
	v_addc_co_u32_e32 v5, vcc, v13, v5, vcc
	global_load_dword v9, v[4:5], off
	v_lshlrev_b32_e32 v4, 2, v0
	v_add_u32_e32 v5, 1, v0
	ds_write2st64_b32 v4, v2, v2 offset0:24 offset1:28
	s_waitcnt vmcnt(3)
	ds_write2st64_b32 v4, v8, v15 offset1:4
	s_waitcnt vmcnt(2)
	ds_write2st64_b32 v4, v10, v6 offset0:8 offset1:12
	s_waitcnt vmcnt(1)
	ds_write2st64_b32 v4, v12, v7 offset0:16 offset1:20
	;; [unrolled: 2-line block ×3, first 2 shown]
	s_waitcnt lgkmcnt(0)
	s_barrier
	s_and_saveexec_b64 s[8:9], s[0:1]
	s_cbranch_execz .LBB18_2
; %bb.1:
	v_lshlrev_b32_e32 v18, 3, v5
	v_add_u32_e32 v6, -8, v18
	v_lshlrev_b32_e32 v2, 1, v5
	ds_read_b64 v[10:11], v6
	v_add_u32_e32 v6, 0x1f8, v18
	v_min_u32_e32 v2, 0x1ff, v2
	ds_read2st64_b64 v[6:9], v6 offset0:3 offset1:7
	v_lshlrev_b32_e32 v2, 2, v2
	ds_read2st64_b32 v[12:13], v2 offset1:8
	ds_read_b64 v[14:15], v18 offset:8184
	s_waitcnt lgkmcnt(2)
	v_div_scale_f32 v16, s[2:3], v6, v6, v11
	s_waitcnt lgkmcnt(1)
	v_div_scale_f32 v17, s[2:3], v13, v13, v9
	v_div_scale_f32 v19, vcc, v11, v6, v11
	v_div_scale_f32 v20, s[2:3], v9, v13, v9
	v_rcp_f32_e32 v21, v16
	v_rcp_f32_e32 v22, v17
	v_fma_f32 v23, -v16, v21, 1.0
	v_fmac_f32_e32 v21, v23, v21
	v_fma_f32 v23, -v17, v22, 1.0
	v_mul_f32_e32 v24, v19, v21
	v_fmac_f32_e32 v22, v23, v22
	v_fma_f32 v23, -v16, v24, v19
	v_mul_f32_e32 v25, v20, v22
	v_fmac_f32_e32 v24, v23, v21
	v_fma_f32 v23, -v17, v25, v20
	v_fma_f32 v16, -v16, v24, v19
	v_fmac_f32_e32 v25, v23, v22
	v_div_fmas_f32 v19, v16, v21, v24
	v_fma_f32 v16, -v17, v25, v20
	s_mov_b64 vcc, s[2:3]
	v_div_fmas_f32 v20, v16, v22, v25
	ds_read2st64_b32 v[16:17], v2 offset0:16 offset1:32
	v_add_u32_e32 v21, -4, v18
	v_add_u32_e32 v22, 0xfc, v18
	v_div_fixup_f32 v2, v19, v6, v11
	v_fma_f32 v7, -v2, v8, v7
	s_waitcnt lgkmcnt(1)
	v_fma_f32 v8, -v2, v14, v15
	v_div_fixup_f32 v6, v20, v13, v9
	v_mul_f32_e64 v2, v2, -v10
	s_waitcnt lgkmcnt(0)
	v_fma_f32 v8, -v6, v17, v8
	v_fma_f32 v7, -v6, v12, v7
	ds_write_b32 v21, v2
	v_mul_f32_e64 v2, v6, -v16
	ds_write_b32 v18, v8 offset:8188
	ds_write2st64_b32 v22, v7, v2 offset0:7 offset1:15
.LBB18_2:
	s_or_b64 exec, exec, s[8:9]
	s_movk_i32 s2, 0x80
	v_cmp_gt_u32_e64 s[2:3], s2, v0
	s_waitcnt lgkmcnt(0)
	s_barrier
	s_and_saveexec_b64 s[10:11], s[2:3]
	s_cbranch_execz .LBB18_4
; %bb.3:
	v_lshlrev_b32_e32 v2, 4, v5
	v_lshl_or_b32 v6, v5, 2, 1
	v_min_u32_e32 v10, 0x1ff, v6
	v_add_u32_e32 v16, -4, v2
	v_add_u32_e32 v6, 0x400, v2
	ds_read_b32 v17, v16
	ds_read2_b32 v[6:7], v6 offset0:253 offset1:255
	v_add_u32_e32 v8, 0xc00, v2
	ds_read2_b32 v[8:9], v8 offset0:253 offset1:255
	v_lshlrev_b32_e32 v14, 2, v10
	v_add_u32_e32 v12, -12, v2
	ds_read2st64_b32 v[10:11], v14 offset1:8
	ds_read_b32 v18, v12
	s_waitcnt lgkmcnt(3)
	v_div_scale_f32 v12, s[8:9], v6, v6, v17
	v_div_scale_f32 v15, vcc, v17, v6, v17
	s_waitcnt lgkmcnt(1)
	v_div_scale_f32 v13, s[8:9], v11, v11, v9
	v_div_scale_f32 v19, s[8:9], v9, v11, v9
	v_rcp_f32_e32 v20, v12
	v_rcp_f32_e32 v21, v13
	v_fma_f32 v22, -v12, v20, 1.0
	v_fmac_f32_e32 v20, v22, v20
	v_mul_f32_e32 v23, v15, v20
	v_fma_f32 v22, -v13, v21, 1.0
	v_fmac_f32_e32 v21, v22, v21
	v_fma_f32 v22, -v12, v23, v15
	v_fmac_f32_e32 v23, v22, v20
	v_mul_f32_e32 v24, v19, v21
	v_fma_f32 v12, -v12, v23, v15
	v_div_fmas_f32 v20, v12, v20, v23
	v_fma_f32 v12, -v13, v24, v19
	v_fmac_f32_e32 v24, v12, v21
	v_fma_f32 v12, -v13, v24, v19
	s_mov_b64 vcc, s[8:9]
	v_div_fmas_f32 v19, v12, v21, v24
	v_add_u32_e32 v12, 0x1c00, v2
	ds_read2_b32 v[12:13], v12 offset0:253 offset1:255
	ds_read2st64_b32 v[14:15], v14 offset0:16 offset1:32
	v_add_u32_e32 v21, 0xfc, v2
	v_div_fixup_f32 v6, v20, v6, v17
	v_fma_f32 v7, -v6, v8, v7
	s_waitcnt lgkmcnt(1)
	v_fma_f32 v8, -v6, v12, v13
	v_mul_f32_e64 v6, v6, -v18
	ds_write_b32 v16, v6
	v_div_fixup_f32 v9, v19, v11, v9
	s_waitcnt lgkmcnt(1)
	v_fma_f32 v8, -v9, v15, v8
	v_fma_f32 v7, -v9, v10, v7
	v_mul_f32_e64 v6, v9, -v14
	ds_write_b32 v2, v8 offset:8188
	ds_write2st64_b32 v21, v7, v6 offset0:7 offset1:15
.LBB18_4:
	s_or_b64 exec, exec, s[10:11]
	v_cmp_gt_u32_e64 s[20:21], 64, v0
	s_waitcnt lgkmcnt(0)
	s_barrier
	s_and_saveexec_b64 s[10:11], s[20:21]
	s_cbranch_execz .LBB18_6
; %bb.5:
	v_lshlrev_b32_e32 v2, 5, v5
	v_lshl_or_b32 v6, v5, 3, 3
	v_min_u32_e32 v10, 0x1ff, v6
	v_add_u32_e32 v16, -4, v2
	v_add_u32_e32 v6, 0x400, v2
	ds_read_b32 v17, v16
	ds_read2_b32 v[6:7], v6 offset0:251 offset1:255
	v_add_u32_e32 v8, 0xc00, v2
	ds_read2_b32 v[8:9], v8 offset0:251 offset1:255
	v_lshlrev_b32_e32 v14, 2, v10
	v_subrev_u32_e32 v12, 20, v2
	ds_read2st64_b32 v[10:11], v14 offset1:8
	ds_read_b32 v18, v12
	s_waitcnt lgkmcnt(3)
	v_div_scale_f32 v12, s[8:9], v6, v6, v17
	v_div_scale_f32 v15, vcc, v17, v6, v17
	s_waitcnt lgkmcnt(1)
	v_div_scale_f32 v13, s[8:9], v11, v11, v9
	v_div_scale_f32 v19, s[8:9], v9, v11, v9
	v_rcp_f32_e32 v20, v12
	v_rcp_f32_e32 v21, v13
	v_fma_f32 v22, -v12, v20, 1.0
	v_fmac_f32_e32 v20, v22, v20
	v_mul_f32_e32 v23, v15, v20
	v_fma_f32 v22, -v13, v21, 1.0
	v_fmac_f32_e32 v21, v22, v21
	v_fma_f32 v22, -v12, v23, v15
	v_fmac_f32_e32 v23, v22, v20
	v_mul_f32_e32 v24, v19, v21
	v_fma_f32 v12, -v12, v23, v15
	v_div_fmas_f32 v20, v12, v20, v23
	v_fma_f32 v12, -v13, v24, v19
	v_fmac_f32_e32 v24, v12, v21
	v_fma_f32 v12, -v13, v24, v19
	s_mov_b64 vcc, s[8:9]
	v_div_fmas_f32 v19, v12, v21, v24
	v_add_u32_e32 v12, 0x1c00, v2
	ds_read2_b32 v[12:13], v12 offset0:251 offset1:255
	ds_read2st64_b32 v[14:15], v14 offset0:16 offset1:32
	v_add_u32_e32 v21, 0xfc, v2
	v_div_fixup_f32 v6, v20, v6, v17
	v_fma_f32 v7, -v6, v8, v7
	s_waitcnt lgkmcnt(1)
	v_fma_f32 v8, -v6, v12, v13
	v_mul_f32_e64 v6, v6, -v18
	ds_write_b32 v16, v6
	v_div_fixup_f32 v9, v19, v11, v9
	s_waitcnt lgkmcnt(1)
	v_fma_f32 v8, -v9, v15, v8
	v_fma_f32 v7, -v9, v10, v7
	v_mul_f32_e64 v6, v9, -v14
	ds_write_b32 v2, v8 offset:8188
	ds_write2st64_b32 v21, v7, v6 offset0:7 offset1:15
.LBB18_6:
	s_or_b64 exec, exec, s[10:11]
	v_cmp_gt_u32_e64 s[8:9], 32, v0
	s_waitcnt lgkmcnt(0)
	s_barrier
	s_and_saveexec_b64 s[12:13], s[8:9]
	s_cbranch_execz .LBB18_8
; %bb.7:
	v_lshlrev_b32_e32 v2, 6, v5
	v_lshl_or_b32 v6, v5, 4, 7
	v_min_u32_e32 v10, 0x1ff, v6
	v_add_u32_e32 v16, -4, v2
	v_add_u32_e32 v6, 0x400, v2
	ds_read_b32 v17, v16
	ds_read2_b32 v[6:7], v6 offset0:247 offset1:255
	v_add_u32_e32 v8, 0xc00, v2
	ds_read2_b32 v[8:9], v8 offset0:247 offset1:255
	v_lshlrev_b32_e32 v14, 2, v10
	v_subrev_u32_e32 v12, 36, v2
	ds_read2st64_b32 v[10:11], v14 offset1:8
	ds_read_b32 v18, v12
	s_waitcnt lgkmcnt(3)
	v_div_scale_f32 v12, s[10:11], v6, v6, v17
	v_div_scale_f32 v15, vcc, v17, v6, v17
	s_waitcnt lgkmcnt(1)
	v_div_scale_f32 v13, s[10:11], v11, v11, v9
	v_div_scale_f32 v19, s[10:11], v9, v11, v9
	v_rcp_f32_e32 v20, v12
	v_rcp_f32_e32 v21, v13
	v_fma_f32 v22, -v12, v20, 1.0
	v_fmac_f32_e32 v20, v22, v20
	v_mul_f32_e32 v23, v15, v20
	v_fma_f32 v22, -v13, v21, 1.0
	v_fmac_f32_e32 v21, v22, v21
	v_fma_f32 v22, -v12, v23, v15
	v_fmac_f32_e32 v23, v22, v20
	v_mul_f32_e32 v24, v19, v21
	v_fma_f32 v12, -v12, v23, v15
	v_div_fmas_f32 v20, v12, v20, v23
	v_fma_f32 v12, -v13, v24, v19
	v_fmac_f32_e32 v24, v12, v21
	v_fma_f32 v12, -v13, v24, v19
	s_mov_b64 vcc, s[10:11]
	v_div_fmas_f32 v19, v12, v21, v24
	v_add_u32_e32 v12, 0x1c00, v2
	ds_read2_b32 v[12:13], v12 offset0:247 offset1:255
	ds_read2st64_b32 v[14:15], v14 offset0:16 offset1:32
	v_add_u32_e32 v21, 0xfc, v2
	v_div_fixup_f32 v6, v20, v6, v17
	v_fma_f32 v7, -v6, v8, v7
	s_waitcnt lgkmcnt(1)
	v_fma_f32 v8, -v6, v12, v13
	v_mul_f32_e64 v6, v6, -v18
	ds_write_b32 v16, v6
	v_div_fixup_f32 v9, v19, v11, v9
	s_waitcnt lgkmcnt(1)
	v_fma_f32 v8, -v9, v15, v8
	v_fma_f32 v7, -v9, v10, v7
	v_mul_f32_e64 v6, v9, -v14
	ds_write_b32 v2, v8 offset:8188
	ds_write2st64_b32 v21, v7, v6 offset0:7 offset1:15
.LBB18_8:
	s_or_b64 exec, exec, s[12:13]
	v_cmp_gt_u32_e64 s[10:11], 16, v0
	s_waitcnt lgkmcnt(0)
	s_barrier
	s_and_saveexec_b64 s[14:15], s[10:11]
	s_cbranch_execz .LBB18_10
; %bb.9:
	v_lshlrev_b32_e32 v2, 7, v5
	v_lshl_or_b32 v6, v5, 5, 15
	v_min_u32_e32 v10, 0x1ff, v6
	v_add_u32_e32 v16, -4, v2
	v_add_u32_e32 v6, 0x400, v2
	ds_read_b32 v17, v16
	ds_read2_b32 v[6:7], v6 offset0:239 offset1:255
	v_add_u32_e32 v8, 0xc00, v2
	ds_read2_b32 v[8:9], v8 offset0:239 offset1:255
	v_lshlrev_b32_e32 v14, 2, v10
	v_add_u32_e32 v12, 0xffffffbc, v2
	ds_read2st64_b32 v[10:11], v14 offset1:8
	ds_read_b32 v18, v12
	s_waitcnt lgkmcnt(3)
	v_div_scale_f32 v12, s[12:13], v6, v6, v17
	v_div_scale_f32 v15, vcc, v17, v6, v17
	s_waitcnt lgkmcnt(1)
	v_div_scale_f32 v13, s[12:13], v11, v11, v9
	v_div_scale_f32 v19, s[12:13], v9, v11, v9
	v_rcp_f32_e32 v20, v12
	v_rcp_f32_e32 v21, v13
	v_fma_f32 v22, -v12, v20, 1.0
	v_fmac_f32_e32 v20, v22, v20
	v_mul_f32_e32 v23, v15, v20
	v_fma_f32 v22, -v13, v21, 1.0
	v_fmac_f32_e32 v21, v22, v21
	v_fma_f32 v22, -v12, v23, v15
	v_fmac_f32_e32 v23, v22, v20
	v_mul_f32_e32 v24, v19, v21
	v_fma_f32 v12, -v12, v23, v15
	v_div_fmas_f32 v20, v12, v20, v23
	v_fma_f32 v12, -v13, v24, v19
	v_fmac_f32_e32 v24, v12, v21
	v_fma_f32 v12, -v13, v24, v19
	s_mov_b64 vcc, s[12:13]
	v_div_fmas_f32 v19, v12, v21, v24
	v_add_u32_e32 v12, 0x1c00, v2
	ds_read2_b32 v[12:13], v12 offset0:239 offset1:255
	ds_read2st64_b32 v[14:15], v14 offset0:16 offset1:32
	v_add_u32_e32 v21, 0xfc, v2
	v_div_fixup_f32 v6, v20, v6, v17
	v_fma_f32 v7, -v6, v8, v7
	s_waitcnt lgkmcnt(1)
	v_fma_f32 v8, -v6, v12, v13
	v_mul_f32_e64 v6, v6, -v18
	ds_write_b32 v16, v6
	v_div_fixup_f32 v9, v19, v11, v9
	s_waitcnt lgkmcnt(1)
	v_fma_f32 v8, -v9, v15, v8
	v_fma_f32 v7, -v9, v10, v7
	v_mul_f32_e64 v6, v9, -v14
	ds_write_b32 v2, v8 offset:8188
	ds_write2st64_b32 v21, v7, v6 offset0:7 offset1:15
.LBB18_10:
	s_or_b64 exec, exec, s[14:15]
	v_cmp_gt_u32_e64 s[12:13], 8, v0
	s_waitcnt lgkmcnt(0)
	s_barrier
	s_and_saveexec_b64 s[16:17], s[12:13]
	s_cbranch_execz .LBB18_12
; %bb.11:
	v_lshlrev_b32_e32 v2, 8, v5
	v_lshl_or_b32 v6, v5, 6, 31
	v_min_u32_e32 v10, 0x1ff, v6
	v_add_u32_e32 v16, -4, v2
	v_add_u32_e32 v6, 0x400, v2
	ds_read_b32 v17, v16
	ds_read2_b32 v[6:7], v6 offset0:223 offset1:255
	v_add_u32_e32 v8, 0xc00, v2
	ds_read2_b32 v[8:9], v8 offset0:223 offset1:255
	v_lshlrev_b32_e32 v14, 2, v10
	v_add_u32_e32 v12, 0xffffff7c, v2
	ds_read2st64_b32 v[10:11], v14 offset1:8
	ds_read_b32 v18, v12
	s_waitcnt lgkmcnt(3)
	v_div_scale_f32 v12, s[14:15], v6, v6, v17
	v_div_scale_f32 v15, vcc, v17, v6, v17
	s_waitcnt lgkmcnt(1)
	v_div_scale_f32 v13, s[14:15], v11, v11, v9
	v_div_scale_f32 v19, s[14:15], v9, v11, v9
	v_rcp_f32_e32 v20, v12
	v_rcp_f32_e32 v21, v13
	v_fma_f32 v22, -v12, v20, 1.0
	v_fmac_f32_e32 v20, v22, v20
	v_mul_f32_e32 v23, v15, v20
	v_fma_f32 v22, -v13, v21, 1.0
	v_fmac_f32_e32 v21, v22, v21
	v_fma_f32 v22, -v12, v23, v15
	v_fmac_f32_e32 v23, v22, v20
	v_mul_f32_e32 v24, v19, v21
	v_fma_f32 v12, -v12, v23, v15
	v_div_fmas_f32 v20, v12, v20, v23
	v_fma_f32 v12, -v13, v24, v19
	v_fmac_f32_e32 v24, v12, v21
	v_fma_f32 v12, -v13, v24, v19
	s_mov_b64 vcc, s[14:15]
	v_div_fmas_f32 v19, v12, v21, v24
	v_add_u32_e32 v12, 0x1c00, v2
	ds_read2_b32 v[12:13], v12 offset0:223 offset1:255
	ds_read2st64_b32 v[14:15], v14 offset0:16 offset1:32
	v_add_u32_e32 v21, 0xfc, v2
	v_div_fixup_f32 v6, v20, v6, v17
	v_fma_f32 v7, -v6, v8, v7
	s_waitcnt lgkmcnt(1)
	v_fma_f32 v8, -v6, v12, v13
	v_mul_f32_e64 v6, v6, -v18
	ds_write_b32 v16, v6
	v_div_fixup_f32 v9, v19, v11, v9
	s_waitcnt lgkmcnt(1)
	v_fma_f32 v8, -v9, v15, v8
	v_fma_f32 v7, -v9, v10, v7
	v_mul_f32_e64 v6, v9, -v14
	ds_write_b32 v2, v8 offset:8188
	ds_write2st64_b32 v21, v7, v6 offset0:7 offset1:15
.LBB18_12:
	s_or_b64 exec, exec, s[16:17]
	v_cmp_gt_u32_e64 s[16:17], 4, v0
	s_waitcnt lgkmcnt(0)
	s_barrier
	s_and_saveexec_b64 s[18:19], s[16:17]
	s_cbranch_execz .LBB18_14
; %bb.13:
	v_lshlrev_b32_e32 v2, 9, v5
	v_add_u32_e32 v16, -4, v2
	v_lshl_or_b32 v6, v5, 7, 63
	ds_read_b32 v17, v16
	v_min_u32_e32 v6, 0x1ff, v6
	v_lshlrev_b32_e32 v15, 2, v6
	v_add_u32_e32 v14, 0xfffffefc, v2
	v_add_u32_e32 v18, 0xfc, v2
	ds_read2st64_b32 v[6:7], v15 offset1:8
	ds_read2st64_b32 v[8:9], v18 offset0:6 offset1:7
	ds_read2st64_b32 v[10:11], v18 offset0:14 offset1:15
	;; [unrolled: 1-line block ×3, first 2 shown]
	ds_read_b32 v19, v14
	s_waitcnt lgkmcnt(3)
	v_div_scale_f32 v14, s[14:15], v8, v8, v17
	s_waitcnt lgkmcnt(2)
	v_div_scale_f32 v20, s[14:15], v7, v7, v11
	v_div_scale_f32 v21, vcc, v17, v8, v17
	v_div_scale_f32 v22, s[14:15], v11, v7, v11
	v_rcp_f32_e32 v23, v14
	v_rcp_f32_e32 v24, v20
	v_fma_f32 v25, -v14, v23, 1.0
	v_fmac_f32_e32 v23, v25, v23
	v_fma_f32 v25, -v20, v24, 1.0
	v_mul_f32_e32 v26, v21, v23
	v_fmac_f32_e32 v24, v25, v24
	v_fma_f32 v25, -v14, v26, v21
	v_fmac_f32_e32 v26, v25, v23
	v_mul_f32_e32 v27, v22, v24
	v_fma_f32 v14, -v14, v26, v21
	v_div_fmas_f32 v21, v14, v23, v26
	v_fma_f32 v14, -v20, v27, v22
	v_fmac_f32_e32 v27, v14, v24
	v_fma_f32 v14, -v20, v27, v22
	s_mov_b64 vcc, s[14:15]
	v_div_fmas_f32 v20, v14, v24, v27
	ds_read2st64_b32 v[14:15], v15 offset0:16 offset1:32
	v_div_fixup_f32 v8, v21, v8, v17
	v_fma_f32 v9, -v8, v10, v9
	s_waitcnt lgkmcnt(2)
	v_fma_f32 v10, -v8, v12, v13
	s_waitcnt lgkmcnt(1)
	v_mul_f32_e64 v8, v8, -v19
	ds_write_b32 v16, v8
	v_div_fixup_f32 v7, v20, v7, v11
	v_fma_f32 v6, -v7, v6, v9
	s_waitcnt lgkmcnt(1)
	v_fma_f32 v9, -v7, v15, v10
	v_mul_f32_e64 v7, v7, -v14
	ds_write_b32 v2, v9 offset:8188
	ds_write2st64_b32 v18, v6, v7 offset0:7 offset1:15
.LBB18_14:
	s_or_b64 exec, exec, s[18:19]
	v_cmp_gt_u32_e64 s[18:19], 2, v0
	s_waitcnt lgkmcnt(0)
	s_barrier
	s_and_saveexec_b64 s[22:23], s[18:19]
	s_cbranch_execz .LBB18_16
; %bb.15:
	v_lshlrev_b32_e32 v2, 10, v5
	v_mov_b32_e32 v6, 0x7f
	v_add_u32_e32 v15, -4, v2
	v_lshl_or_b32 v5, v5, 8, v6
	ds_read_b32 v16, v15
	v_add_u32_e32 v17, 0xfc, v2
	v_min_u32_e32 v9, 0x1ff, v5
	ds_read2st64_b32 v[5:6], v17 offset0:5 offset1:7
	ds_read2st64_b32 v[7:8], v17 offset0:13 offset1:15
	v_lshlrev_b32_e32 v13, 2, v9
	v_add_u32_e32 v11, 0xfffffdfc, v2
	ds_read2st64_b32 v[9:10], v13 offset1:8
	ds_read_b32 v18, v11
	s_waitcnt lgkmcnt(3)
	v_div_scale_f32 v11, s[14:15], v5, v5, v16
	v_div_scale_f32 v14, vcc, v16, v5, v16
	s_waitcnt lgkmcnt(1)
	v_div_scale_f32 v12, s[14:15], v10, v10, v8
	v_div_scale_f32 v19, s[14:15], v8, v10, v8
	v_rcp_f32_e32 v20, v11
	v_rcp_f32_e32 v21, v12
	v_fma_f32 v22, -v11, v20, 1.0
	v_fmac_f32_e32 v20, v22, v20
	v_mul_f32_e32 v22, v14, v20
	v_fma_f32 v23, -v12, v21, 1.0
	v_fma_f32 v24, -v11, v22, v14
	v_fmac_f32_e32 v21, v23, v21
	v_fmac_f32_e32 v22, v24, v20
	v_mul_f32_e32 v23, v19, v21
	v_fma_f32 v11, -v11, v22, v14
	v_div_fmas_f32 v20, v11, v20, v22
	v_fma_f32 v11, -v12, v23, v19
	v_fmac_f32_e32 v23, v11, v21
	v_fma_f32 v11, -v12, v23, v19
	s_mov_b64 vcc, s[14:15]
	v_div_fmas_f32 v19, v11, v21, v23
	ds_read2st64_b32 v[11:12], v17 offset0:29 offset1:31
	ds_read2st64_b32 v[13:14], v13 offset0:16 offset1:32
	v_div_fixup_f32 v5, v20, v5, v16
	v_fma_f32 v6, -v5, v7, v6
	s_waitcnt lgkmcnt(1)
	v_fma_f32 v7, -v5, v11, v12
	v_mul_f32_e64 v5, v5, -v18
	ds_write_b32 v15, v5
	v_div_fixup_f32 v8, v19, v10, v8
	v_fma_f32 v5, -v8, v9, v6
	s_waitcnt lgkmcnt(1)
	v_fma_f32 v6, -v8, v14, v7
	v_mul_f32_e64 v7, v8, -v13
	ds_write_b32 v2, v6 offset:8188
	ds_write2st64_b32 v17, v5, v7 offset0:7 offset1:15
.LBB18_16:
	s_or_b64 exec, exec, s[22:23]
	v_cmp_ne_u32_e64 s[14:15], 0, v0
	v_cmp_eq_u32_e32 vcc, 0, v0
	s_waitcnt lgkmcnt(0)
	s_barrier
	s_and_saveexec_b64 s[22:23], vcc
	s_cbranch_execz .LBB18_18
; %bb.17:
	s_movk_i32 s6, 0xfc
	v_add_u32_e64 v2, s6, 0
	ds_read2st64_b32 v[5:6], v2 offset0:15 offset1:19
	ds_read2st64_b32 v[7:8], v2 offset0:7 offset1:11
	s_waitcnt lgkmcnt(0)
	v_mul_f32_e32 v9, v6, v7
	v_fma_f32 v11, v5, v8, -v9
	v_div_scale_f32 v9, s[24:25], v11, v11, 1.0
	v_div_scale_f32 v10, vcc, 1.0, v11, 1.0
	v_rcp_f32_e32 v12, v9
	v_fma_f32 v13, -v9, v12, 1.0
	v_fmac_f32_e32 v12, v13, v12
	v_mul_f32_e32 v13, v10, v12
	v_fma_f32 v14, -v9, v13, v10
	v_fmac_f32_e32 v13, v14, v12
	v_fma_f32 v9, -v9, v13, v10
	v_div_fmas_f32 v12, v9, v12, v13
	ds_read2st64_b32 v[9:10], v2 offset0:35 offset1:39
	s_waitcnt lgkmcnt(0)
	v_mul_f32_e32 v6, v6, v10
	v_mul_f32_e32 v7, v7, v9
	v_fma_f32 v5, v5, v9, -v6
	v_fma_f32 v6, v8, v10, -v7
	v_div_fixup_f32 v7, v12, v11, 1.0
	v_mul_f32_e32 v5, v7, v5
	v_mul_f32_e32 v6, v7, v6
	ds_write2st64_b32 v2, v5, v6 offset0:27 offset1:31
.LBB18_18:
	s_or_b64 exec, exec, s[22:23]
	s_load_dwordx2 s[22:23], s[4:5], 0x30
	v_lshlrev_b32_e32 v5, 8, v0
	s_waitcnt lgkmcnt(0)
	s_barrier
	s_and_saveexec_b64 s[24:25], s[18:19]
	s_cbranch_execz .LBB18_22
; %bb.19:
	v_lshlrev_b32_e32 v2, 10, v0
	ds_read_b32 v6, v2 offset:8700
	v_lshlrev_b32_e32 v2, 2, v5
	s_and_saveexec_b64 s[18:19], s[14:15]
	s_cbranch_execz .LBB18_21
; %bb.20:
	v_add_u32_e32 v7, 0xfc, v2
	ds_read2st64_b32 v[7:8], v7 offset0:1 offset1:23
	s_waitcnt lgkmcnt(0)
	v_fma_f32 v6, -v7, v8, v6
.LBB18_21:
	s_or_b64 exec, exec, s[18:19]
	v_add_u32_e32 v7, 0xfc, v2
	ds_read_b32 v9, v2 offset:7164
	ds_read2st64_b32 v[7:8], v7 offset0:9 offset1:17
	s_waitcnt lgkmcnt(0)
	v_fma_f32 v6, -v8, v9, v6
	v_div_scale_f32 v8, s[18:19], v7, v7, v6
	v_div_scale_f32 v9, vcc, v6, v7, v6
	v_rcp_f32_e32 v10, v8
	v_fma_f32 v11, -v8, v10, 1.0
	v_fmac_f32_e32 v10, v11, v10
	v_mul_f32_e32 v11, v9, v10
	v_fma_f32 v12, -v8, v11, v9
	v_fmac_f32_e32 v11, v12, v10
	v_fma_f32 v8, -v8, v11, v9
	v_div_fmas_f32 v8, v8, v10, v11
	v_div_fixup_f32 v6, v8, v7, v6
	ds_write_b32 v2, v6 offset:6652
.LBB18_22:
	s_or_b64 exec, exec, s[24:25]
	v_or_b32_e32 v2, 0x1800, v4
	v_lshlrev_b32_e32 v6, 7, v0
	s_waitcnt lgkmcnt(0)
	s_barrier
	s_and_saveexec_b64 s[18:19], s[16:17]
	s_cbranch_execz .LBB18_26
; %bb.23:
	v_lshlrev_b32_e32 v7, 9, v0
	ds_read_b32 v8, v7 offset:8444
	v_lshlrev_b32_e32 v7, 2, v6
	s_and_saveexec_b64 s[16:17], s[14:15]
	s_cbranch_execz .LBB18_25
; %bb.24:
	v_add_u32_e32 v9, 0xfc, v7
	ds_read2st64_b32 v[9:10], v9 offset1:23
	s_waitcnt lgkmcnt(0)
	v_fma_f32 v8, -v9, v10, v8
.LBB18_25:
	s_or_b64 exec, exec, s[16:17]
	v_add_u32_e32 v9, 0xfc, v7
	ds_read_b32 v11, v7 offset:6652
	ds_read2st64_b32 v[9:10], v9 offset0:8 offset1:16
	s_waitcnt lgkmcnt(0)
	v_fma_f32 v8, -v10, v11, v8
	v_div_scale_f32 v10, s[16:17], v9, v9, v8
	v_div_scale_f32 v11, vcc, v8, v9, v8
	v_rcp_f32_e32 v12, v10
	v_fma_f32 v13, -v10, v12, 1.0
	v_fmac_f32_e32 v12, v13, v12
	v_mul_f32_e32 v13, v11, v12
	v_fma_f32 v14, -v10, v13, v11
	v_fmac_f32_e32 v13, v14, v12
	v_fma_f32 v10, -v10, v13, v11
	v_div_fmas_f32 v10, v10, v12, v13
	v_div_fixup_f32 v8, v10, v9, v8
	ds_write_b32 v7, v8 offset:6396
.LBB18_26:
	s_or_b64 exec, exec, s[18:19]
	v_lshlrev_b32_e32 v7, 6, v0
	s_waitcnt lgkmcnt(0)
	s_barrier
	s_and_saveexec_b64 s[16:17], s[12:13]
	s_cbranch_execz .LBB18_30
; %bb.27:
	ds_read_b32 v8, v5 offset:8316
	v_lshlrev_b32_e32 v5, 2, v7
	s_and_saveexec_b64 s[12:13], s[14:15]
	s_cbranch_execz .LBB18_29
; %bb.28:
	ds_read_b32 v9, v5 offset:124
	ds_read_b32 v10, v5 offset:6140
	s_waitcnt lgkmcnt(0)
	v_fma_f32 v8, -v9, v10, v8
.LBB18_29:
	s_or_b64 exec, exec, s[12:13]
	v_add_u32_e32 v9, 0x7c, v5
	ds_read_b32 v11, v5 offset:6396
	ds_read2st64_b32 v[9:10], v9 offset0:8 offset1:16
	s_waitcnt lgkmcnt(0)
	v_fma_f32 v8, -v10, v11, v8
	v_div_scale_f32 v10, s[12:13], v9, v9, v8
	v_div_scale_f32 v11, vcc, v8, v9, v8
	v_rcp_f32_e32 v12, v10
	v_fma_f32 v13, -v10, v12, 1.0
	v_fmac_f32_e32 v12, v13, v12
	v_mul_f32_e32 v13, v11, v12
	v_fma_f32 v14, -v10, v13, v11
	v_fmac_f32_e32 v13, v14, v12
	v_fma_f32 v10, -v10, v13, v11
	v_div_fmas_f32 v10, v10, v12, v13
	v_div_fixup_f32 v8, v10, v9, v8
	ds_write_b32 v5, v8 offset:6268
.LBB18_30:
	s_or_b64 exec, exec, s[16:17]
	v_lshlrev_b32_e32 v5, 5, v0
	s_waitcnt lgkmcnt(0)
	s_barrier
	s_and_saveexec_b64 s[12:13], s[10:11]
	s_cbranch_execz .LBB18_34
; %bb.31:
	ds_read_b32 v8, v6 offset:8252
	v_lshlrev_b32_e32 v6, 2, v5
	s_and_saveexec_b64 s[10:11], s[14:15]
	s_cbranch_execz .LBB18_33
; %bb.32:
	ds_read_b32 v9, v6 offset:60
	ds_read_b32 v10, v6 offset:6140
	s_waitcnt lgkmcnt(0)
	v_fma_f32 v8, -v9, v10, v8
.LBB18_33:
	s_or_b64 exec, exec, s[10:11]
	v_add_u32_e32 v9, 60, v6
	ds_read_b32 v11, v6 offset:6268
	ds_read2st64_b32 v[9:10], v9 offset0:8 offset1:16
	s_waitcnt lgkmcnt(0)
	v_fma_f32 v8, -v10, v11, v8
	v_div_scale_f32 v10, s[10:11], v9, v9, v8
	v_div_scale_f32 v11, vcc, v8, v9, v8
	v_rcp_f32_e32 v12, v10
	v_fma_f32 v13, -v10, v12, 1.0
	v_fmac_f32_e32 v12, v13, v12
	v_mul_f32_e32 v13, v11, v12
	v_fma_f32 v14, -v10, v13, v11
	v_fmac_f32_e32 v13, v14, v12
	v_fma_f32 v10, -v10, v13, v11
	v_div_fmas_f32 v10, v10, v12, v13
	v_div_fixup_f32 v8, v10, v9, v8
	ds_write_b32 v6, v8 offset:6204
.LBB18_34:
	s_or_b64 exec, exec, s[12:13]
	v_lshlrev_b32_e32 v8, 4, v0
	s_waitcnt lgkmcnt(0)
	s_barrier
	s_and_saveexec_b64 s[10:11], s[8:9]
	s_cbranch_execz .LBB18_38
; %bb.35:
	ds_read_b32 v7, v7 offset:8220
	v_lshlrev_b32_e32 v6, 2, v8
	s_and_saveexec_b64 s[8:9], s[14:15]
	s_cbranch_execz .LBB18_37
; %bb.36:
	ds_read_b32 v9, v6 offset:28
	ds_read_b32 v10, v6 offset:6140
	s_waitcnt lgkmcnt(0)
	v_fma_f32 v7, -v9, v10, v7
.LBB18_37:
	s_or_b64 exec, exec, s[8:9]
	v_add_u32_e32 v9, 28, v6
	ds_read_b32 v11, v6 offset:6204
	ds_read2st64_b32 v[9:10], v9 offset0:8 offset1:16
	s_waitcnt lgkmcnt(0)
	v_fma_f32 v7, -v10, v11, v7
	v_div_scale_f32 v10, s[8:9], v9, v9, v7
	v_div_scale_f32 v11, vcc, v7, v9, v7
	v_rcp_f32_e32 v12, v10
	v_fma_f32 v13, -v10, v12, 1.0
	v_fmac_f32_e32 v12, v13, v12
	v_mul_f32_e32 v13, v11, v12
	v_fma_f32 v14, -v10, v13, v11
	v_fmac_f32_e32 v13, v14, v12
	v_fma_f32 v10, -v10, v13, v11
	v_div_fmas_f32 v10, v10, v12, v13
	v_div_fixup_f32 v7, v10, v9, v7
	ds_write_b32 v6, v7 offset:6172
.LBB18_38:
	s_or_b64 exec, exec, s[10:11]
	v_lshlrev_b32_e32 v6, 3, v0
	s_waitcnt lgkmcnt(0)
	s_barrier
	s_and_saveexec_b64 s[8:9], s[20:21]
	s_cbranch_execz .LBB18_42
; %bb.39:
	ds_read_b32 v7, v5 offset:8204
	v_lshlrev_b32_e32 v5, 2, v6
	s_and_saveexec_b64 s[10:11], s[14:15]
	s_cbranch_execz .LBB18_41
; %bb.40:
	ds_read_b32 v9, v5 offset:12
	ds_read_b32 v10, v5 offset:6140
	s_waitcnt lgkmcnt(0)
	v_fma_f32 v7, -v9, v10, v7
.LBB18_41:
	s_or_b64 exec, exec, s[10:11]
	v_add_u32_e32 v9, 12, v5
	ds_read_b32 v11, v5 offset:6172
	ds_read2st64_b32 v[9:10], v9 offset0:8 offset1:16
	s_waitcnt lgkmcnt(0)
	v_fma_f32 v7, -v10, v11, v7
	v_div_scale_f32 v10, s[10:11], v9, v9, v7
	v_div_scale_f32 v11, vcc, v7, v9, v7
	v_rcp_f32_e32 v12, v10
	v_fma_f32 v13, -v10, v12, 1.0
	v_fmac_f32_e32 v12, v13, v12
	v_mul_f32_e32 v13, v11, v12
	v_fma_f32 v14, -v10, v13, v11
	v_fmac_f32_e32 v13, v14, v12
	v_fma_f32 v10, -v10, v13, v11
	v_div_fmas_f32 v10, v10, v12, v13
	v_div_fixup_f32 v7, v10, v9, v7
	ds_write_b32 v5, v7 offset:6156
.LBB18_42:
	s_or_b64 exec, exec, s[8:9]
	s_waitcnt lgkmcnt(0)
	s_barrier
	s_and_saveexec_b64 s[8:9], s[2:3]
	s_cbranch_execz .LBB18_46
; %bb.43:
	ds_read_b32 v5, v8 offset:8196
	v_lshlrev_b32_e32 v4, 2, v4
	s_and_saveexec_b64 s[2:3], s[14:15]
	s_cbranch_execz .LBB18_45
; %bb.44:
	ds_read_b32 v7, v4 offset:4
	ds_read_b32 v8, v4 offset:6140
	s_waitcnt lgkmcnt(0)
	v_fma_f32 v5, -v7, v8, v5
.LBB18_45:
	s_or_b64 exec, exec, s[2:3]
	v_add_u32_e32 v7, 4, v4
	ds_read_b32 v9, v4 offset:6156
	ds_read2st64_b32 v[7:8], v7 offset0:8 offset1:16
	s_waitcnt lgkmcnt(0)
	v_fma_f32 v5, -v8, v9, v5
	v_div_scale_f32 v8, s[2:3], v7, v7, v5
	v_div_scale_f32 v9, vcc, v5, v7, v5
	v_rcp_f32_e32 v10, v8
	v_fma_f32 v11, -v8, v10, 1.0
	v_fmac_f32_e32 v10, v11, v10
	v_mul_f32_e32 v11, v9, v10
	v_fma_f32 v12, -v8, v11, v9
	v_fmac_f32_e32 v11, v12, v10
	v_fma_f32 v8, -v8, v11, v9
	v_div_fmas_f32 v8, v8, v10, v11
	v_div_fixup_f32 v5, v8, v7, v5
	ds_write_b32 v4, v5 offset:6148
.LBB18_46:
	s_or_b64 exec, exec, s[8:9]
	s_waitcnt lgkmcnt(0)
	s_barrier
	s_and_saveexec_b64 s[2:3], s[0:1]
	s_cbranch_execz .LBB18_50
; %bb.47:
	ds_read_b32 v4, v6 offset:8192
	v_lshlrev_b32_e32 v0, 1, v0
	v_lshlrev_b32_e32 v0, 2, v0
	s_and_saveexec_b64 s[0:1], s[14:15]
	s_cbranch_execz .LBB18_49
; %bb.48:
	ds_read_b32 v5, v0
	ds_read_b32 v6, v0 offset:6140
	s_waitcnt lgkmcnt(0)
	v_fma_f32 v4, -v5, v6, v4
.LBB18_49:
	s_or_b64 exec, exec, s[0:1]
	ds_read2st64_b32 v[5:6], v0 offset0:8 offset1:16
	ds_read_b32 v7, v0 offset:6148
	s_waitcnt lgkmcnt(0)
	v_fma_f32 v4, -v6, v7, v4
	v_div_scale_f32 v6, s[0:1], v5, v5, v4
	v_div_scale_f32 v7, vcc, v4, v5, v4
	v_rcp_f32_e32 v8, v6
	v_fma_f32 v9, -v6, v8, 1.0
	v_fmac_f32_e32 v8, v9, v8
	v_mul_f32_e32 v9, v7, v8
	v_fma_f32 v10, -v6, v9, v7
	v_fmac_f32_e32 v9, v10, v8
	v_fma_f32 v6, -v6, v9, v7
	v_div_fmas_f32 v6, v6, v8, v9
	v_div_fixup_f32 v4, v6, v5, v4
	ds_write_b32 v0, v4 offset:6144
.LBB18_50:
	s_or_b64 exec, exec, s[2:3]
	s_load_dword s0, s[4:5], 0x8
	s_waitcnt lgkmcnt(0)
	s_barrier
	ds_read2st64_b32 v[4:5], v2 offset1:4
	s_mul_i32 s0, s0, s7
	v_add_u32_e32 v0, s0, v1
	v_mov_b32_e32 v1, 0
	v_lshlrev_b64 v[6:7], 2, v[0:1]
	v_mov_b32_e32 v0, s23
	v_add_co_u32_e32 v6, vcc, s22, v6
	v_addc_co_u32_e32 v7, vcc, v0, v7, vcc
	v_add_u32_e32 v0, s0, v3
	v_lshlrev_b64 v[0:1], 2, v[0:1]
	v_mov_b32_e32 v2, s23
	v_add_co_u32_e32 v0, vcc, s22, v0
	v_addc_co_u32_e32 v1, vcc, v2, v1, vcc
	s_waitcnt lgkmcnt(0)
	global_store_dword v[6:7], v4, off
	global_store_dword v[0:1], v5, off
	s_endpgm
	.section	.rodata,"a",@progbits
	.p2align	6, 0x0
	.amdhsa_kernel _ZN9rocsparseL34gtsv_nopivot_cr_pow2_stage2_kernelILj256EfEEviiiPKT0_S3_S3_S3_PS1_
		.amdhsa_group_segment_fixed_size 10240
		.amdhsa_private_segment_fixed_size 0
		.amdhsa_kernarg_size 312
		.amdhsa_user_sgpr_count 6
		.amdhsa_user_sgpr_private_segment_buffer 1
		.amdhsa_user_sgpr_dispatch_ptr 0
		.amdhsa_user_sgpr_queue_ptr 0
		.amdhsa_user_sgpr_kernarg_segment_ptr 1
		.amdhsa_user_sgpr_dispatch_id 0
		.amdhsa_user_sgpr_flat_scratch_init 0
		.amdhsa_user_sgpr_private_segment_size 0
		.amdhsa_uses_dynamic_stack 0
		.amdhsa_system_sgpr_private_segment_wavefront_offset 0
		.amdhsa_system_sgpr_workgroup_id_x 1
		.amdhsa_system_sgpr_workgroup_id_y 1
		.amdhsa_system_sgpr_workgroup_id_z 0
		.amdhsa_system_sgpr_workgroup_info 0
		.amdhsa_system_vgpr_workitem_id 0
		.amdhsa_next_free_vgpr 37
		.amdhsa_next_free_sgpr 93
		.amdhsa_reserve_vcc 1
		.amdhsa_reserve_flat_scratch 0
		.amdhsa_float_round_mode_32 0
		.amdhsa_float_round_mode_16_64 0
		.amdhsa_float_denorm_mode_32 3
		.amdhsa_float_denorm_mode_16_64 3
		.amdhsa_dx10_clamp 1
		.amdhsa_ieee_mode 1
		.amdhsa_fp16_overflow 0
		.amdhsa_exception_fp_ieee_invalid_op 0
		.amdhsa_exception_fp_denorm_src 0
		.amdhsa_exception_fp_ieee_div_zero 0
		.amdhsa_exception_fp_ieee_overflow 0
		.amdhsa_exception_fp_ieee_underflow 0
		.amdhsa_exception_fp_ieee_inexact 0
		.amdhsa_exception_int_div_zero 0
	.end_amdhsa_kernel
	.section	.text._ZN9rocsparseL34gtsv_nopivot_cr_pow2_stage2_kernelILj256EfEEviiiPKT0_S3_S3_S3_PS1_,"axG",@progbits,_ZN9rocsparseL34gtsv_nopivot_cr_pow2_stage2_kernelILj256EfEEviiiPKT0_S3_S3_S3_PS1_,comdat
.Lfunc_end18:
	.size	_ZN9rocsparseL34gtsv_nopivot_cr_pow2_stage2_kernelILj256EfEEviiiPKT0_S3_S3_S3_PS1_, .Lfunc_end18-_ZN9rocsparseL34gtsv_nopivot_cr_pow2_stage2_kernelILj256EfEEviiiPKT0_S3_S3_S3_PS1_
                                        ; -- End function
	.set _ZN9rocsparseL34gtsv_nopivot_cr_pow2_stage2_kernelILj256EfEEviiiPKT0_S3_S3_S3_PS1_.num_vgpr, 28
	.set _ZN9rocsparseL34gtsv_nopivot_cr_pow2_stage2_kernelILj256EfEEviiiPKT0_S3_S3_S3_PS1_.num_agpr, 0
	.set _ZN9rocsparseL34gtsv_nopivot_cr_pow2_stage2_kernelILj256EfEEviiiPKT0_S3_S3_S3_PS1_.numbered_sgpr, 26
	.set _ZN9rocsparseL34gtsv_nopivot_cr_pow2_stage2_kernelILj256EfEEviiiPKT0_S3_S3_S3_PS1_.num_named_barrier, 0
	.set _ZN9rocsparseL34gtsv_nopivot_cr_pow2_stage2_kernelILj256EfEEviiiPKT0_S3_S3_S3_PS1_.private_seg_size, 0
	.set _ZN9rocsparseL34gtsv_nopivot_cr_pow2_stage2_kernelILj256EfEEviiiPKT0_S3_S3_S3_PS1_.uses_vcc, 1
	.set _ZN9rocsparseL34gtsv_nopivot_cr_pow2_stage2_kernelILj256EfEEviiiPKT0_S3_S3_S3_PS1_.uses_flat_scratch, 0
	.set _ZN9rocsparseL34gtsv_nopivot_cr_pow2_stage2_kernelILj256EfEEviiiPKT0_S3_S3_S3_PS1_.has_dyn_sized_stack, 0
	.set _ZN9rocsparseL34gtsv_nopivot_cr_pow2_stage2_kernelILj256EfEEviiiPKT0_S3_S3_S3_PS1_.has_recursion, 0
	.set _ZN9rocsparseL34gtsv_nopivot_cr_pow2_stage2_kernelILj256EfEEviiiPKT0_S3_S3_S3_PS1_.has_indirect_call, 0
	.section	.AMDGPU.csdata,"",@progbits
; Kernel info:
; codeLenInByte = 5180
; TotalNumSgprs: 30
; NumVgprs: 28
; ScratchSize: 0
; MemoryBound: 0
; FloatMode: 240
; IeeeMode: 1
; LDSByteSize: 10240 bytes/workgroup (compile time only)
; SGPRBlocks: 12
; VGPRBlocks: 9
; NumSGPRsForWavesPerEU: 97
; NumVGPRsForWavesPerEU: 37
; Occupancy: 6
; WaveLimiterHint : 0
; COMPUTE_PGM_RSRC2:SCRATCH_EN: 0
; COMPUTE_PGM_RSRC2:USER_SGPR: 6
; COMPUTE_PGM_RSRC2:TRAP_HANDLER: 0
; COMPUTE_PGM_RSRC2:TGID_X_EN: 1
; COMPUTE_PGM_RSRC2:TGID_Y_EN: 1
; COMPUTE_PGM_RSRC2:TGID_Z_EN: 0
; COMPUTE_PGM_RSRC2:TIDIG_COMP_CNT: 0
	.section	.text._ZN9rocsparseL32gtsv_nopivot_pcr_stage1_n_kernelILj256EfEEviiiiPKT0_S3_S3_S3_PS1_S4_S4_S4_,"axG",@progbits,_ZN9rocsparseL32gtsv_nopivot_pcr_stage1_n_kernelILj256EfEEviiiiPKT0_S3_S3_S3_PS1_S4_S4_S4_,comdat
	.globl	_ZN9rocsparseL32gtsv_nopivot_pcr_stage1_n_kernelILj256EfEEviiiiPKT0_S3_S3_S3_PS1_S4_S4_S4_ ; -- Begin function _ZN9rocsparseL32gtsv_nopivot_pcr_stage1_n_kernelILj256EfEEviiiiPKT0_S3_S3_S3_PS1_S4_S4_S4_
	.p2align	8
	.type	_ZN9rocsparseL32gtsv_nopivot_pcr_stage1_n_kernelILj256EfEEviiiiPKT0_S3_S3_S3_PS1_S4_S4_S4_,@function
_ZN9rocsparseL32gtsv_nopivot_pcr_stage1_n_kernelILj256EfEEviiiiPKT0_S3_S3_S3_PS1_S4_S4_S4_: ; @_ZN9rocsparseL32gtsv_nopivot_pcr_stage1_n_kernelILj256EfEEviiiiPKT0_S3_S3_S3_PS1_S4_S4_S4_
; %bb.0:
	s_load_dwordx2 s[2:3], s[4:5], 0x0
	v_lshl_or_b32 v0, s6, 8, v0
	s_waitcnt lgkmcnt(0)
	v_cmp_gt_i32_e32 vcc, s3, v0
	s_and_saveexec_b64 s[0:1], vcc
	s_cbranch_execz .LBB19_2
; %bb.1:
	s_load_dwordx8 s[8:15], s[4:5], 0x10
	v_add_u32_e32 v1, s2, v0
	s_add_i32 s0, s3, -1
	v_min_i32_e32 v2, s0, v1
	v_subrev_u32_e32 v1, s2, v0
	v_max_i32_e32 v3, 0, v1
	v_ashrrev_i32_e32 v1, 31, v0
	v_lshlrev_b64 v[0:1], 2, v[0:1]
	s_waitcnt lgkmcnt(0)
	v_mov_b32_e32 v5, s9
	v_add_co_u32_e32 v4, vcc, s8, v0
	v_addc_co_u32_e32 v5, vcc, v5, v1, vcc
	global_load_dword v16, v[4:5], off
	v_mov_b32_e32 v4, 0
	v_lshlrev_b64 v[4:5], 2, v[3:4]
	v_mov_b32_e32 v3, s11
	v_add_co_u32_e32 v6, vcc, s10, v4
	v_addc_co_u32_e32 v7, vcc, v3, v5, vcc
	global_load_dword v17, v[6:7], off
	v_mov_b32_e32 v3, s13
	v_add_co_u32_e32 v6, vcc, s12, v0
	v_addc_co_u32_e32 v7, vcc, v3, v1, vcc
	v_ashrrev_i32_e32 v3, 31, v2
	v_lshlrev_b64 v[2:3], 2, v[2:3]
	global_load_dword v18, v[6:7], off
	v_mov_b32_e32 v7, s11
	v_add_co_u32_e32 v6, vcc, s10, v2
	v_addc_co_u32_e32 v7, vcc, v7, v3, vcc
	global_load_dword v19, v[6:7], off
	v_mov_b32_e32 v7, s9
	v_add_co_u32_e32 v6, vcc, s8, v4
	v_addc_co_u32_e32 v7, vcc, v7, v5, vcc
	v_mov_b32_e32 v9, s13
	v_add_co_u32_e32 v8, vcc, s12, v2
	v_addc_co_u32_e32 v9, vcc, v9, v3, vcc
	s_load_dword s0, s[4:5], 0xc
	v_mov_b32_e32 v11, s11
	v_add_co_u32_e32 v10, vcc, s10, v0
	v_addc_co_u32_e32 v11, vcc, v11, v1, vcc
	v_mov_b32_e32 v13, s13
	v_add_co_u32_e32 v12, vcc, s12, v4
	v_addc_co_u32_e32 v13, vcc, v13, v5, vcc
	v_mov_b32_e32 v15, s9
	v_add_co_u32_e32 v14, vcc, s8, v2
	s_mov_b32 s9, 0
	s_waitcnt lgkmcnt(0)
	s_mul_i32 s8, s0, s7
	s_lshl_b64 s[0:1], s[8:9], 2
	s_add_u32 s2, s14, s0
	v_addc_co_u32_e32 v15, vcc, v15, v3, vcc
	s_addc_u32 s0, s15, s1
	global_load_dword v20, v[6:7], off
	global_load_dword v21, v[8:9], off
	;; [unrolled: 1-line block ×4, first 2 shown]
                                        ; kill: killed $vgpr6 killed $vgpr7
                                        ; kill: killed $vgpr12 killed $vgpr13
                                        ; kill: killed $vgpr10 killed $vgpr11
                                        ; kill: killed $vgpr8 killed $vgpr9
	s_nop 0
	global_load_dword v8, v[14:15], off
	v_mov_b32_e32 v6, s0
	v_add_co_u32_e32 v2, vcc, s2, v2
	v_addc_co_u32_e32 v3, vcc, v6, v3, vcc
	v_mov_b32_e32 v7, s0
	v_add_co_u32_e32 v4, vcc, s2, v4
	v_addc_co_u32_e32 v5, vcc, v7, v5, vcc
	;; [unrolled: 3-line block ×3, first 2 shown]
	global_load_dword v9, v[4:5], off
	global_load_dword v12, v[6:7], off
	;; [unrolled: 1-line block ×3, first 2 shown]
	s_load_dwordx8 s[12:19], s[4:5], 0x30
	s_mul_i32 s8, s3, s7
	s_waitcnt vmcnt(10)
	v_div_scale_f32 v10, s[0:1], v17, v17, v16
	v_div_scale_f32 v2, vcc, v16, v17, v16
	s_waitcnt vmcnt(8)
	v_div_scale_f32 v11, s[0:1], v19, v19, v18
	v_rcp_f32_e32 v3, v10
	v_fma_f32 v5, -v10, v3, 1.0
	v_fmac_f32_e32 v3, v5, v3
	v_rcp_f32_e32 v4, v11
	v_fma_f32 v5, -v11, v4, 1.0
	v_fmac_f32_e32 v4, v5, v4
	v_mul_f32_e32 v5, v2, v3
	v_fma_f32 v6, -v10, v5, v2
	v_fmac_f32_e32 v5, v6, v3
	v_div_scale_f32 v6, s[0:1], v18, v19, v18
	v_fma_f32 v2, -v10, v5, v2
	v_div_fmas_f32 v7, v2, v3, v5
	s_mov_b64 vcc, s[0:1]
	s_waitcnt lgkmcnt(0)
	v_mov_b32_e32 v5, s13
	s_lshl_b64 s[0:1], s[8:9], 2
	s_add_u32 s0, s18, s0
	s_addc_u32 s1, s19, s1
	v_mul_f32_e32 v2, v6, v4
	v_fma_f32 v3, -v11, v2, v6
	v_fmac_f32_e32 v2, v3, v4
	v_fma_f32 v3, -v11, v2, v6
	v_div_fmas_f32 v6, v3, v4, v2
	v_mov_b32_e32 v3, s15
	v_add_co_u32_e32 v2, vcc, s14, v0
	v_addc_co_u32_e32 v3, vcc, v3, v1, vcc
	v_div_fixup_f32 v7, v7, v17, v16
	v_add_co_u32_e32 v4, vcc, s12, v0
	s_waitcnt vmcnt(4)
	v_fma_f32 v10, -v7, v23, v22
	v_addc_co_u32_e32 v5, vcc, v5, v1, vcc
	v_mul_f32_e64 v11, v7, -v20
	v_div_fixup_f32 v6, v6, v19, v18
	s_waitcnt vmcnt(3)
	v_fma_f32 v8, -v6, v8, v10
	global_store_dword v[2:3], v8, off
	global_store_dword v[4:5], v11, off
	v_mov_b32_e32 v3, s17
	v_add_co_u32_e32 v2, vcc, s16, v0
	v_mul_f32_e64 v4, v6, -v21
	v_addc_co_u32_e32 v3, vcc, v3, v1, vcc
	global_store_dword v[2:3], v4, off
	s_waitcnt vmcnt(4)
	v_fma_f32 v2, -v7, v9, v12
	v_mov_b32_e32 v3, s1
	v_add_co_u32_e32 v0, vcc, s0, v0
	s_waitcnt vmcnt(3)
	v_fma_f32 v2, -v6, v13, v2
	v_addc_co_u32_e32 v1, vcc, v3, v1, vcc
	global_store_dword v[0:1], v2, off
.LBB19_2:
	s_endpgm
	.section	.rodata,"a",@progbits
	.p2align	6, 0x0
	.amdhsa_kernel _ZN9rocsparseL32gtsv_nopivot_pcr_stage1_n_kernelILj256EfEEviiiiPKT0_S3_S3_S3_PS1_S4_S4_S4_
		.amdhsa_group_segment_fixed_size 0
		.amdhsa_private_segment_fixed_size 0
		.amdhsa_kernarg_size 80
		.amdhsa_user_sgpr_count 6
		.amdhsa_user_sgpr_private_segment_buffer 1
		.amdhsa_user_sgpr_dispatch_ptr 0
		.amdhsa_user_sgpr_queue_ptr 0
		.amdhsa_user_sgpr_kernarg_segment_ptr 1
		.amdhsa_user_sgpr_dispatch_id 0
		.amdhsa_user_sgpr_flat_scratch_init 0
		.amdhsa_user_sgpr_private_segment_size 0
		.amdhsa_uses_dynamic_stack 0
		.amdhsa_system_sgpr_private_segment_wavefront_offset 0
		.amdhsa_system_sgpr_workgroup_id_x 1
		.amdhsa_system_sgpr_workgroup_id_y 1
		.amdhsa_system_sgpr_workgroup_id_z 0
		.amdhsa_system_sgpr_workgroup_info 0
		.amdhsa_system_vgpr_workitem_id 0
		.amdhsa_next_free_vgpr 24
		.amdhsa_next_free_sgpr 20
		.amdhsa_reserve_vcc 1
		.amdhsa_reserve_flat_scratch 0
		.amdhsa_float_round_mode_32 0
		.amdhsa_float_round_mode_16_64 0
		.amdhsa_float_denorm_mode_32 3
		.amdhsa_float_denorm_mode_16_64 3
		.amdhsa_dx10_clamp 1
		.amdhsa_ieee_mode 1
		.amdhsa_fp16_overflow 0
		.amdhsa_exception_fp_ieee_invalid_op 0
		.amdhsa_exception_fp_denorm_src 0
		.amdhsa_exception_fp_ieee_div_zero 0
		.amdhsa_exception_fp_ieee_overflow 0
		.amdhsa_exception_fp_ieee_underflow 0
		.amdhsa_exception_fp_ieee_inexact 0
		.amdhsa_exception_int_div_zero 0
	.end_amdhsa_kernel
	.section	.text._ZN9rocsparseL32gtsv_nopivot_pcr_stage1_n_kernelILj256EfEEviiiiPKT0_S3_S3_S3_PS1_S4_S4_S4_,"axG",@progbits,_ZN9rocsparseL32gtsv_nopivot_pcr_stage1_n_kernelILj256EfEEviiiiPKT0_S3_S3_S3_PS1_S4_S4_S4_,comdat
.Lfunc_end19:
	.size	_ZN9rocsparseL32gtsv_nopivot_pcr_stage1_n_kernelILj256EfEEviiiiPKT0_S3_S3_S3_PS1_S4_S4_S4_, .Lfunc_end19-_ZN9rocsparseL32gtsv_nopivot_pcr_stage1_n_kernelILj256EfEEviiiiPKT0_S3_S3_S3_PS1_S4_S4_S4_
                                        ; -- End function
	.set _ZN9rocsparseL32gtsv_nopivot_pcr_stage1_n_kernelILj256EfEEviiiiPKT0_S3_S3_S3_PS1_S4_S4_S4_.num_vgpr, 24
	.set _ZN9rocsparseL32gtsv_nopivot_pcr_stage1_n_kernelILj256EfEEviiiiPKT0_S3_S3_S3_PS1_S4_S4_S4_.num_agpr, 0
	.set _ZN9rocsparseL32gtsv_nopivot_pcr_stage1_n_kernelILj256EfEEviiiiPKT0_S3_S3_S3_PS1_S4_S4_S4_.numbered_sgpr, 20
	.set _ZN9rocsparseL32gtsv_nopivot_pcr_stage1_n_kernelILj256EfEEviiiiPKT0_S3_S3_S3_PS1_S4_S4_S4_.num_named_barrier, 0
	.set _ZN9rocsparseL32gtsv_nopivot_pcr_stage1_n_kernelILj256EfEEviiiiPKT0_S3_S3_S3_PS1_S4_S4_S4_.private_seg_size, 0
	.set _ZN9rocsparseL32gtsv_nopivot_pcr_stage1_n_kernelILj256EfEEviiiiPKT0_S3_S3_S3_PS1_S4_S4_S4_.uses_vcc, 1
	.set _ZN9rocsparseL32gtsv_nopivot_pcr_stage1_n_kernelILj256EfEEviiiiPKT0_S3_S3_S3_PS1_S4_S4_S4_.uses_flat_scratch, 0
	.set _ZN9rocsparseL32gtsv_nopivot_pcr_stage1_n_kernelILj256EfEEviiiiPKT0_S3_S3_S3_PS1_S4_S4_S4_.has_dyn_sized_stack, 0
	.set _ZN9rocsparseL32gtsv_nopivot_pcr_stage1_n_kernelILj256EfEEviiiiPKT0_S3_S3_S3_PS1_S4_S4_S4_.has_recursion, 0
	.set _ZN9rocsparseL32gtsv_nopivot_pcr_stage1_n_kernelILj256EfEEviiiiPKT0_S3_S3_S3_PS1_S4_S4_S4_.has_indirect_call, 0
	.section	.AMDGPU.csdata,"",@progbits
; Kernel info:
; codeLenInByte = 708
; TotalNumSgprs: 24
; NumVgprs: 24
; ScratchSize: 0
; MemoryBound: 0
; FloatMode: 240
; IeeeMode: 1
; LDSByteSize: 0 bytes/workgroup (compile time only)
; SGPRBlocks: 2
; VGPRBlocks: 5
; NumSGPRsForWavesPerEU: 24
; NumVGPRsForWavesPerEU: 24
; Occupancy: 10
; WaveLimiterHint : 0
; COMPUTE_PGM_RSRC2:SCRATCH_EN: 0
; COMPUTE_PGM_RSRC2:USER_SGPR: 6
; COMPUTE_PGM_RSRC2:TRAP_HANDLER: 0
; COMPUTE_PGM_RSRC2:TGID_X_EN: 1
; COMPUTE_PGM_RSRC2:TGID_Y_EN: 1
; COMPUTE_PGM_RSRC2:TGID_Z_EN: 0
; COMPUTE_PGM_RSRC2:TIDIG_COMP_CNT: 0
	.section	.text._ZN9rocsparseL30gtsv_nopivot_pcr_stage2_kernelILj512EfEEviiiPKT0_S3_S3_S3_PS1_,"axG",@progbits,_ZN9rocsparseL30gtsv_nopivot_pcr_stage2_kernelILj512EfEEviiiPKT0_S3_S3_S3_PS1_,comdat
	.globl	_ZN9rocsparseL30gtsv_nopivot_pcr_stage2_kernelILj512EfEEviiiPKT0_S3_S3_S3_PS1_ ; -- Begin function _ZN9rocsparseL30gtsv_nopivot_pcr_stage2_kernelILj512EfEEviiiPKT0_S3_S3_S3_PS1_
	.p2align	8
	.type	_ZN9rocsparseL30gtsv_nopivot_pcr_stage2_kernelILj512EfEEviiiPKT0_S3_S3_S3_PS1_,@function
_ZN9rocsparseL30gtsv_nopivot_pcr_stage2_kernelILj512EfEEviiiPKT0_S3_S3_S3_PS1_: ; @_ZN9rocsparseL30gtsv_nopivot_pcr_stage2_kernelILj512EfEEviiiPKT0_S3_S3_S3_PS1_
; %bb.0:
	s_load_dword s2, s[4:5], 0x38
	s_load_dword s3, s[4:5], 0x0
	s_load_dwordx8 s[8:15], s[4:5], 0x10
	v_sub_u32_e64 v8, v0, 1 clamp
	v_lshlrev_b32_e32 v11, 2, v8
	s_waitcnt lgkmcnt(0)
	v_mul_lo_u32 v1, s2, v0
	s_add_i32 s16, s3, s6
	s_sub_i32 s17, s16, s2
	v_mov_b32_e32 v5, s9
	v_add_u32_e32 v1, s6, v1
	v_ashrrev_i32_e32 v2, 31, v1
	v_cmp_gt_i32_e64 s[0:1], s3, v1
	v_cndmask_b32_e64 v3, 0, v2, s[0:1]
	v_mov_b32_e32 v2, s17
	v_cndmask_b32_e64 v2, v2, v1, s[0:1]
	v_lshlrev_b64 v[2:3], 2, v[2:3]
	s_mul_i32 s3, s3, s7
	v_add_co_u32_e32 v4, vcc, s8, v2
	v_addc_co_u32_e32 v5, vcc, v5, v3, vcc
	global_load_dword v6, v[4:5], off
	v_mov_b32_e32 v5, s11
	v_add_co_u32_e32 v4, vcc, s10, v2
	v_addc_co_u32_e32 v5, vcc, v5, v3, vcc
	global_load_dword v4, v[4:5], off
	v_mov_b32_e32 v5, s13
	v_add_co_u32_e32 v2, vcc, s12, v2
	s_add_i32 s16, s16, s3
	v_addc_co_u32_e32 v3, vcc, v5, v3, vcc
	s_sub_i32 s2, s16, s2
	global_load_dword v5, v[2:3], off
	v_add_u32_e32 v2, s3, v1
	v_mov_b32_e32 v3, s2
	v_cndmask_b32_e64 v2, v3, v2, s[0:1]
	v_mov_b32_e32 v3, 0
	v_lshlrev_b64 v[2:3], 2, v[2:3]
	v_mov_b32_e32 v7, s15
	v_add_co_u32_e32 v2, vcc, s14, v2
	v_addc_co_u32_e32 v3, vcc, v7, v3, vcc
	global_load_dword v3, v[2:3], off
	v_min_u32_e32 v7, 0x1fe, v0
	v_lshlrev_b32_e32 v2, 2, v0
	v_lshlrev_b32_e32 v7, 2, v7
	v_add_u32_e32 v13, 4, v7
	s_waitcnt vmcnt(2)
	ds_write2st64_b32 v2, v6, v4 offset1:8
	s_waitcnt vmcnt(0)
	ds_write2st64_b32 v2, v5, v3 offset0:16 offset1:32
	s_waitcnt lgkmcnt(0)
	s_barrier
	ds_read2st64_b32 v[3:4], v2 offset1:8
	ds_read2st64_b32 v[5:6], v11 offset1:8
	ds_read2st64_b32 v[7:8], v2 offset0:16 offset1:32
	ds_read2st64_b32 v[9:10], v13 offset1:8
	s_waitcnt lgkmcnt(2)
	v_div_scale_f32 v12, s[2:3], v6, v6, v3
	s_waitcnt lgkmcnt(0)
	v_div_scale_f32 v14, s[2:3], v10, v10, v7
	v_div_scale_f32 v15, vcc, v3, v6, v3
	v_rcp_f32_e32 v16, v12
	v_rcp_f32_e32 v17, v14
	v_fma_f32 v18, -v12, v16, 1.0
	v_fmac_f32_e32 v16, v18, v16
	v_fma_f32 v19, -v14, v17, 1.0
	v_mul_f32_e32 v18, v15, v16
	v_fmac_f32_e32 v17, v19, v17
	v_fma_f32 v19, -v12, v18, v15
	v_fmac_f32_e32 v18, v19, v16
	v_div_scale_f32 v19, s[2:3], v7, v10, v7
	v_fma_f32 v12, -v12, v18, v15
	v_div_fmas_f32 v15, v12, v16, v18
	s_mov_b64 vcc, s[2:3]
	v_min_u32_e32 v12, 0x1fd, v0
	v_lshlrev_b32_e32 v12, 2, v12
	v_add_u32_e32 v18, 8, v12
	v_mul_f32_e32 v20, v19, v17
	v_fma_f32 v21, -v14, v20, v19
	v_fmac_f32_e32 v20, v21, v17
	v_fma_f32 v14, -v14, v20, v19
	v_div_fmas_f32 v16, v14, v17, v20
	v_sub_u32_e64 v14, v0, 2 clamp
	v_lshlrev_b32_e32 v17, 2, v14
	ds_read2st64_b32 v[11:12], v11 offset0:16 offset1:32
	ds_read2st64_b32 v[13:14], v13 offset0:16 offset1:32
	v_div_fixup_f32 v3, v15, v6, v3
	s_waitcnt lgkmcnt(0)
	s_barrier
	v_fma_f32 v4, -v3, v11, v4
	v_div_fixup_f32 v6, v16, v10, v7
	v_fma_f32 v7, -v3, v12, v8
	v_mul_f32_e64 v3, v3, -v5
	v_fma_f32 v4, -v6, v9, v4
	v_fma_f32 v5, -v6, v14, v7
	v_mul_f32_e64 v6, v6, -v13
	ds_write2st64_b32 v2, v3, v4 offset1:8
	ds_write2st64_b32 v2, v6, v5 offset0:16 offset1:32
	s_waitcnt lgkmcnt(0)
	s_barrier
	ds_read2st64_b32 v[3:4], v2 offset1:8
	ds_read2st64_b32 v[5:6], v17 offset1:8
	ds_read2st64_b32 v[7:8], v2 offset0:16 offset1:32
	ds_read2st64_b32 v[9:10], v18 offset1:8
	s_waitcnt lgkmcnt(2)
	v_div_scale_f32 v11, s[2:3], v6, v6, v3
	s_waitcnt lgkmcnt(0)
	v_div_scale_f32 v12, s[2:3], v10, v10, v7
	v_div_scale_f32 v13, vcc, v3, v6, v3
	v_rcp_f32_e32 v14, v11
	v_rcp_f32_e32 v15, v12
	v_fma_f32 v16, -v11, v14, 1.0
	v_fmac_f32_e32 v14, v16, v14
	v_fma_f32 v19, -v12, v15, 1.0
	v_mul_f32_e32 v16, v13, v14
	v_fmac_f32_e32 v15, v19, v15
	v_fma_f32 v19, -v11, v16, v13
	v_fmac_f32_e32 v16, v19, v14
	v_div_scale_f32 v19, s[2:3], v7, v10, v7
	v_fma_f32 v11, -v11, v16, v13
	v_div_fmas_f32 v16, v11, v14, v16
	s_mov_b64 vcc, s[2:3]
	v_min_u32_e32 v11, 0x1fb, v0
	v_lshlrev_b32_e32 v11, 2, v11
	v_mul_f32_e32 v20, v19, v15
	v_fma_f32 v21, -v12, v20, v19
	v_fmac_f32_e32 v20, v21, v15
	v_fma_f32 v12, -v12, v20, v19
	v_div_fmas_f32 v15, v12, v15, v20
	v_sub_u32_e64 v12, v0, 4 clamp
	v_lshlrev_b32_e32 v19, 2, v12
	v_add_u32_e32 v20, 16, v11
	ds_read2st64_b32 v[11:12], v17 offset0:16 offset1:32
	ds_read2st64_b32 v[13:14], v18 offset0:16 offset1:32
	v_div_fixup_f32 v3, v16, v6, v3
	s_waitcnt lgkmcnt(0)
	s_barrier
	v_fma_f32 v4, -v3, v11, v4
	v_div_fixup_f32 v6, v15, v10, v7
	v_fma_f32 v7, -v3, v12, v8
	v_mul_f32_e64 v3, v3, -v5
	v_fma_f32 v4, -v6, v9, v4
	v_fma_f32 v5, -v6, v14, v7
	v_mul_f32_e64 v6, v6, -v13
	ds_write2st64_b32 v2, v3, v4 offset1:8
	ds_write2st64_b32 v2, v6, v5 offset0:16 offset1:32
	s_waitcnt lgkmcnt(0)
	s_barrier
	ds_read2st64_b32 v[3:4], v2 offset1:8
	ds_read2st64_b32 v[5:6], v19 offset1:8
	ds_read2st64_b32 v[7:8], v2 offset0:16 offset1:32
	ds_read2st64_b32 v[9:10], v20 offset1:8
	s_waitcnt lgkmcnt(2)
	v_div_scale_f32 v11, s[2:3], v6, v6, v3
	s_waitcnt lgkmcnt(0)
	v_div_scale_f32 v12, s[2:3], v10, v10, v7
	v_div_scale_f32 v13, vcc, v3, v6, v3
	v_rcp_f32_e32 v14, v11
	v_rcp_f32_e32 v15, v12
	v_fma_f32 v16, -v11, v14, 1.0
	v_fmac_f32_e32 v14, v16, v14
	v_fma_f32 v17, -v12, v15, 1.0
	v_mul_f32_e32 v16, v13, v14
	v_fmac_f32_e32 v15, v17, v15
	v_fma_f32 v17, -v11, v16, v13
	v_fmac_f32_e32 v16, v17, v14
	v_div_scale_f32 v17, s[2:3], v7, v10, v7
	v_fma_f32 v11, -v11, v16, v13
	v_div_fmas_f32 v16, v11, v14, v16
	s_mov_b64 vcc, s[2:3]
	v_min_u32_e32 v11, 0x1f7, v0
	v_lshlrev_b32_e32 v11, 2, v11
	v_mul_f32_e32 v18, v17, v15
	v_fma_f32 v21, -v12, v18, v17
	v_fmac_f32_e32 v18, v21, v15
	v_fma_f32 v12, -v12, v18, v17
	v_div_fmas_f32 v15, v12, v15, v18
	v_sub_u32_e64 v12, v0, 8 clamp
	v_lshlrev_b32_e32 v17, 2, v12
	v_add_u32_e32 v18, 32, v11
	ds_read2st64_b32 v[11:12], v19 offset0:16 offset1:32
	ds_read2st64_b32 v[13:14], v20 offset0:16 offset1:32
	v_div_fixup_f32 v3, v16, v6, v3
	s_waitcnt lgkmcnt(0)
	s_barrier
	v_fma_f32 v4, -v3, v11, v4
	v_div_fixup_f32 v6, v15, v10, v7
	v_fma_f32 v7, -v3, v12, v8
	v_mul_f32_e64 v3, v3, -v5
	v_fma_f32 v4, -v6, v9, v4
	v_fma_f32 v5, -v6, v14, v7
	v_mul_f32_e64 v6, v6, -v13
	ds_write2st64_b32 v2, v3, v4 offset1:8
	ds_write2st64_b32 v2, v6, v5 offset0:16 offset1:32
	s_waitcnt lgkmcnt(0)
	s_barrier
	ds_read2st64_b32 v[3:4], v2 offset1:8
	ds_read2st64_b32 v[5:6], v17 offset1:8
	ds_read2st64_b32 v[7:8], v2 offset0:16 offset1:32
	ds_read2st64_b32 v[9:10], v18 offset1:8
	s_waitcnt lgkmcnt(2)
	v_div_scale_f32 v11, s[2:3], v6, v6, v3
	s_waitcnt lgkmcnt(0)
	v_div_scale_f32 v12, s[2:3], v10, v10, v7
	v_div_scale_f32 v13, vcc, v3, v6, v3
	v_rcp_f32_e32 v14, v11
	v_rcp_f32_e32 v15, v12
	v_fma_f32 v16, -v11, v14, 1.0
	v_fmac_f32_e32 v14, v16, v14
	v_fma_f32 v19, -v12, v15, 1.0
	v_mul_f32_e32 v16, v13, v14
	v_fmac_f32_e32 v15, v19, v15
	v_fma_f32 v19, -v11, v16, v13
	v_fmac_f32_e32 v16, v19, v14
	v_div_scale_f32 v19, s[2:3], v7, v10, v7
	v_fma_f32 v11, -v11, v16, v13
	v_div_fmas_f32 v16, v11, v14, v16
	s_mov_b64 vcc, s[2:3]
	v_min_u32_e32 v11, 0x1ef, v0
	v_lshlrev_b32_e32 v11, 2, v11
	v_mul_f32_e32 v20, v19, v15
	v_fma_f32 v21, -v12, v20, v19
	v_fmac_f32_e32 v20, v21, v15
	v_fma_f32 v12, -v12, v20, v19
	v_div_fmas_f32 v15, v12, v15, v20
	v_sub_u32_e64 v12, v0, 16 clamp
	v_lshlrev_b32_e32 v19, 2, v12
	v_add_u32_e32 v20, 64, v11
	ds_read2st64_b32 v[11:12], v17 offset0:16 offset1:32
	ds_read2st64_b32 v[13:14], v18 offset0:16 offset1:32
	v_div_fixup_f32 v3, v16, v6, v3
	s_waitcnt lgkmcnt(0)
	s_barrier
	v_fma_f32 v4, -v3, v11, v4
	v_div_fixup_f32 v6, v15, v10, v7
	v_fma_f32 v7, -v3, v12, v8
	v_mul_f32_e64 v3, v3, -v5
	v_fma_f32 v4, -v6, v9, v4
	v_fma_f32 v5, -v6, v14, v7
	v_mul_f32_e64 v6, v6, -v13
	ds_write2st64_b32 v2, v3, v4 offset1:8
	ds_write2st64_b32 v2, v6, v5 offset0:16 offset1:32
	s_waitcnt lgkmcnt(0)
	s_barrier
	ds_read2st64_b32 v[3:4], v2 offset1:8
	ds_read2st64_b32 v[5:6], v19 offset1:8
	ds_read2st64_b32 v[7:8], v2 offset0:16 offset1:32
	ds_read2st64_b32 v[9:10], v20 offset1:8
	s_waitcnt lgkmcnt(2)
	v_div_scale_f32 v11, s[2:3], v6, v6, v3
	s_waitcnt lgkmcnt(0)
	v_div_scale_f32 v12, s[2:3], v10, v10, v7
	v_div_scale_f32 v13, vcc, v3, v6, v3
	v_rcp_f32_e32 v14, v11
	v_rcp_f32_e32 v15, v12
	v_fma_f32 v16, -v11, v14, 1.0
	v_fmac_f32_e32 v14, v16, v14
	v_fma_f32 v17, -v12, v15, 1.0
	v_mul_f32_e32 v16, v13, v14
	v_fmac_f32_e32 v15, v17, v15
	v_fma_f32 v17, -v11, v16, v13
	v_fmac_f32_e32 v16, v17, v14
	v_div_scale_f32 v17, s[2:3], v7, v10, v7
	v_fma_f32 v11, -v11, v16, v13
	v_div_fmas_f32 v16, v11, v14, v16
	s_mov_b64 vcc, s[2:3]
	v_min_u32_e32 v11, 0x1df, v0
	v_lshlrev_b32_e32 v11, 2, v11
	v_mul_f32_e32 v18, v17, v15
	v_fma_f32 v21, -v12, v18, v17
	v_fmac_f32_e32 v18, v21, v15
	v_fma_f32 v12, -v12, v18, v17
	v_div_fmas_f32 v15, v12, v15, v18
	v_sub_u32_e64 v12, v0, 32 clamp
	v_lshlrev_b32_e32 v17, 2, v12
	v_add_u32_e32 v18, 0x80, v11
	ds_read2st64_b32 v[11:12], v19 offset0:16 offset1:32
	ds_read2st64_b32 v[13:14], v20 offset0:16 offset1:32
	v_div_fixup_f32 v3, v16, v6, v3
	s_waitcnt lgkmcnt(0)
	s_barrier
	v_fma_f32 v4, -v3, v11, v4
	v_div_fixup_f32 v6, v15, v10, v7
	v_fma_f32 v7, -v3, v12, v8
	v_mul_f32_e64 v3, v3, -v5
	v_fma_f32 v4, -v6, v9, v4
	v_fma_f32 v5, -v6, v14, v7
	v_mul_f32_e64 v6, v6, -v13
	ds_write2st64_b32 v2, v3, v4 offset1:8
	ds_write2st64_b32 v2, v6, v5 offset0:16 offset1:32
	s_waitcnt lgkmcnt(0)
	s_barrier
	ds_read2st64_b32 v[3:4], v2 offset1:8
	ds_read2st64_b32 v[5:6], v17 offset1:8
	ds_read2st64_b32 v[7:8], v2 offset0:16 offset1:32
	ds_read2st64_b32 v[9:10], v18 offset1:8
	s_waitcnt lgkmcnt(2)
	v_div_scale_f32 v11, s[2:3], v6, v6, v3
	s_waitcnt lgkmcnt(0)
	v_div_scale_f32 v12, s[2:3], v10, v10, v7
	v_div_scale_f32 v13, vcc, v3, v6, v3
	v_rcp_f32_e32 v14, v11
	v_rcp_f32_e32 v15, v12
	v_fma_f32 v16, -v11, v14, 1.0
	v_fmac_f32_e32 v14, v16, v14
	v_fma_f32 v19, -v12, v15, 1.0
	v_mul_f32_e32 v16, v13, v14
	v_fmac_f32_e32 v15, v19, v15
	v_fma_f32 v19, -v11, v16, v13
	v_fmac_f32_e32 v16, v19, v14
	v_div_scale_f32 v19, s[2:3], v7, v10, v7
	v_fma_f32 v11, -v11, v16, v13
	v_div_fmas_f32 v16, v11, v14, v16
	s_mov_b64 vcc, s[2:3]
	v_min_u32_e32 v11, 0x1bf, v0
	v_mul_f32_e32 v20, v19, v15
	v_fma_f32 v21, -v12, v20, v19
	v_fmac_f32_e32 v20, v21, v15
	v_fma_f32 v12, -v12, v20, v19
	v_div_fmas_f32 v15, v12, v15, v20
	v_sub_u32_e64 v12, v0, 64 clamp
	v_lshlrev_b32_e32 v19, 2, v12
	v_lshlrev_b32_e32 v20, 2, v11
	ds_read2st64_b32 v[11:12], v17 offset0:16 offset1:32
	ds_read2st64_b32 v[13:14], v18 offset0:16 offset1:32
	v_div_fixup_f32 v3, v16, v6, v3
	s_waitcnt lgkmcnt(0)
	s_barrier
	v_fma_f32 v4, -v3, v11, v4
	v_div_fixup_f32 v6, v15, v10, v7
	v_fma_f32 v7, -v3, v12, v8
	v_mul_f32_e64 v3, v3, -v5
	v_fma_f32 v4, -v6, v9, v4
	v_fma_f32 v5, -v6, v14, v7
	v_mul_f32_e64 v6, v6, -v13
	ds_write2st64_b32 v2, v3, v4 offset1:8
	ds_write2st64_b32 v2, v6, v5 offset0:16 offset1:32
	s_waitcnt lgkmcnt(0)
	s_barrier
	ds_read2st64_b32 v[3:4], v2 offset1:8
	ds_read2st64_b32 v[5:6], v19 offset1:8
	ds_read2st64_b32 v[7:8], v2 offset0:16 offset1:32
	ds_read2st64_b32 v[9:10], v20 offset0:1 offset1:9
	s_waitcnt lgkmcnt(2)
	v_div_scale_f32 v11, s[2:3], v6, v6, v3
	s_waitcnt lgkmcnt(0)
	v_div_scale_f32 v12, s[2:3], v10, v10, v7
	v_div_scale_f32 v13, vcc, v3, v6, v3
	v_rcp_f32_e32 v14, v11
	v_rcp_f32_e32 v15, v12
	v_fma_f32 v16, -v11, v14, 1.0
	v_fmac_f32_e32 v14, v16, v14
	v_fma_f32 v17, -v12, v15, 1.0
	v_mul_f32_e32 v16, v13, v14
	v_fmac_f32_e32 v15, v17, v15
	v_fma_f32 v17, -v11, v16, v13
	v_fmac_f32_e32 v16, v17, v14
	v_div_scale_f32 v17, s[2:3], v7, v10, v7
	v_fma_f32 v11, -v11, v16, v13
	v_div_fmas_f32 v16, v11, v14, v16
	s_mov_b64 vcc, s[2:3]
	s_movk_i32 s2, 0x80
	v_min_u32_e32 v11, 0x17f, v0
	v_mul_f32_e32 v18, v17, v15
	v_fma_f32 v21, -v12, v18, v17
	v_fmac_f32_e32 v18, v21, v15
	v_fma_f32 v12, -v12, v18, v17
	v_div_fmas_f32 v15, v12, v15, v18
	v_sub_u32_e64 v12, v0, s2 clamp
	v_lshlrev_b32_e32 v17, 2, v12
	v_lshlrev_b32_e32 v18, 2, v11
	ds_read2st64_b32 v[11:12], v19 offset0:16 offset1:32
	ds_read2st64_b32 v[13:14], v20 offset0:17 offset1:33
	v_div_fixup_f32 v3, v16, v6, v3
	s_waitcnt lgkmcnt(0)
	s_barrier
	v_fma_f32 v4, -v3, v11, v4
	v_div_fixup_f32 v6, v15, v10, v7
	v_fma_f32 v7, -v3, v12, v8
	v_mul_f32_e64 v3, v3, -v5
	v_fma_f32 v4, -v6, v9, v4
	v_fma_f32 v5, -v6, v14, v7
	v_mul_f32_e64 v6, v6, -v13
	ds_write2st64_b32 v2, v3, v4 offset1:8
	ds_write2st64_b32 v2, v6, v5 offset0:16 offset1:32
	s_waitcnt lgkmcnt(0)
	s_barrier
	ds_read2st64_b32 v[3:4], v2 offset1:8
	ds_read2st64_b32 v[5:6], v17 offset1:8
	ds_read2st64_b32 v[7:8], v2 offset0:16 offset1:32
	ds_read2st64_b32 v[9:10], v18 offset0:2 offset1:10
	s_waitcnt lgkmcnt(2)
	v_div_scale_f32 v11, s[2:3], v6, v6, v3
	s_waitcnt lgkmcnt(0)
	v_div_scale_f32 v12, s[2:3], v10, v10, v7
	v_div_scale_f32 v13, vcc, v3, v6, v3
	v_rcp_f32_e32 v14, v11
	v_rcp_f32_e32 v15, v12
	v_fma_f32 v16, -v11, v14, 1.0
	v_fmac_f32_e32 v14, v16, v14
	v_fma_f32 v19, -v12, v15, 1.0
	v_mul_f32_e32 v16, v13, v14
	v_fmac_f32_e32 v15, v19, v15
	v_fma_f32 v19, -v11, v16, v13
	v_fmac_f32_e32 v16, v19, v14
	v_div_scale_f32 v19, s[2:3], v7, v10, v7
	v_fma_f32 v11, -v11, v16, v13
	v_div_fmas_f32 v16, v11, v14, v16
	s_mov_b64 vcc, s[2:3]
	s_movk_i32 s2, 0x100
	v_mul_f32_e32 v20, v19, v15
	v_fma_f32 v21, -v12, v20, v19
	v_fmac_f32_e32 v20, v21, v15
	v_fma_f32 v12, -v12, v20, v19
	v_div_fmas_f32 v15, v12, v15, v20
	ds_read2st64_b32 v[11:12], v17 offset0:16 offset1:32
	ds_read2st64_b32 v[13:14], v18 offset0:18 offset1:34
	v_div_fixup_f32 v3, v16, v6, v3
	v_cmp_gt_u32_e32 vcc, s2, v0
	s_waitcnt lgkmcnt(0)
	v_fma_f32 v4, -v3, v11, v4
	s_barrier
	v_div_fixup_f32 v6, v15, v10, v7
	v_fma_f32 v7, -v3, v12, v8
	v_mul_f32_e64 v3, v3, -v5
	v_fma_f32 v4, -v6, v9, v4
	v_fma_f32 v5, -v6, v14, v7
	v_mul_f32_e64 v6, v6, -v13
	ds_write2st64_b32 v2, v3, v4 offset1:8
	ds_write2st64_b32 v2, v6, v5 offset0:16 offset1:32
	s_waitcnt lgkmcnt(0)
	s_barrier
	s_and_saveexec_b64 s[2:3], vcc
	s_cbranch_execz .LBB20_2
; %bb.1:
	v_or_b32_e32 v3, 0x1000, v2
	v_or_b32_e32 v0, 0x800, v2
	ds_read_b32 v7, v3
	ds_read_b32 v8, v2 offset:1024
	ds_read2st64_b32 v[3:4], v0 offset1:4
	s_waitcnt lgkmcnt(1)
	v_mul_f32_e32 v0, v7, v8
	s_waitcnt lgkmcnt(0)
	v_fma_f32 v0, v4, v3, -v0
	v_div_scale_f32 v5, s[8:9], v0, v0, 1.0
	v_div_scale_f32 v6, vcc, 1.0, v0, 1.0
	v_rcp_f32_e32 v9, v5
	v_fma_f32 v10, -v5, v9, 1.0
	v_fmac_f32_e32 v9, v10, v9
	v_mul_f32_e32 v10, v6, v9
	v_fma_f32 v11, -v5, v10, v6
	v_fmac_f32_e32 v10, v11, v9
	v_fma_f32 v5, -v5, v10, v6
	v_div_fmas_f32 v9, v5, v9, v10
	v_or_b32_e32 v5, 0x2000, v2
	ds_read2st64_b32 v[5:6], v5 offset1:4
	s_waitcnt lgkmcnt(0)
	v_mul_f32_e32 v7, v7, v6
	v_mul_f32_e32 v8, v8, v5
	v_fma_f32 v4, v4, v5, -v7
	v_fma_f32 v3, v3, v6, -v8
	v_div_fixup_f32 v0, v9, v0, 1.0
	v_mul_f32_e32 v4, v0, v4
	v_mul_f32_e32 v0, v0, v3
	ds_write2st64_b32 v2, v4, v0 offset0:24 offset1:28
.LBB20_2:
	s_or_b64 exec, exec, s[2:3]
	s_waitcnt lgkmcnt(0)
	s_barrier
	s_and_saveexec_b64 s[2:3], s[0:1]
	s_cbranch_execz .LBB20_4
; %bb.3:
	s_load_dword s2, s[4:5], 0x8
	s_load_dwordx2 s[0:1], s[4:5], 0x30
	v_mov_b32_e32 v3, 0
	ds_read_b32 v4, v2 offset:6144
	s_waitcnt lgkmcnt(0)
	s_mul_i32 s2, s2, s7
	v_add_u32_e32 v2, s2, v1
	v_lshlrev_b64 v[0:1], 2, v[2:3]
	v_mov_b32_e32 v5, s1
	v_add_co_u32_e32 v0, vcc, s0, v0
	v_addc_co_u32_e32 v1, vcc, v5, v1, vcc
	global_store_dword v[0:1], v4, off
.LBB20_4:
	s_endpgm
	.section	.rodata,"a",@progbits
	.p2align	6, 0x0
	.amdhsa_kernel _ZN9rocsparseL30gtsv_nopivot_pcr_stage2_kernelILj512EfEEviiiPKT0_S3_S3_S3_PS1_
		.amdhsa_group_segment_fixed_size 10240
		.amdhsa_private_segment_fixed_size 0
		.amdhsa_kernarg_size 312
		.amdhsa_user_sgpr_count 6
		.amdhsa_user_sgpr_private_segment_buffer 1
		.amdhsa_user_sgpr_dispatch_ptr 0
		.amdhsa_user_sgpr_queue_ptr 0
		.amdhsa_user_sgpr_kernarg_segment_ptr 1
		.amdhsa_user_sgpr_dispatch_id 0
		.amdhsa_user_sgpr_flat_scratch_init 0
		.amdhsa_user_sgpr_private_segment_size 0
		.amdhsa_uses_dynamic_stack 0
		.amdhsa_system_sgpr_private_segment_wavefront_offset 0
		.amdhsa_system_sgpr_workgroup_id_x 1
		.amdhsa_system_sgpr_workgroup_id_y 1
		.amdhsa_system_sgpr_workgroup_id_z 0
		.amdhsa_system_sgpr_workgroup_info 0
		.amdhsa_system_vgpr_workitem_id 0
		.amdhsa_next_free_vgpr 22
		.amdhsa_next_free_sgpr 18
		.amdhsa_reserve_vcc 1
		.amdhsa_reserve_flat_scratch 0
		.amdhsa_float_round_mode_32 0
		.amdhsa_float_round_mode_16_64 0
		.amdhsa_float_denorm_mode_32 3
		.amdhsa_float_denorm_mode_16_64 3
		.amdhsa_dx10_clamp 1
		.amdhsa_ieee_mode 1
		.amdhsa_fp16_overflow 0
		.amdhsa_exception_fp_ieee_invalid_op 0
		.amdhsa_exception_fp_denorm_src 0
		.amdhsa_exception_fp_ieee_div_zero 0
		.amdhsa_exception_fp_ieee_overflow 0
		.amdhsa_exception_fp_ieee_underflow 0
		.amdhsa_exception_fp_ieee_inexact 0
		.amdhsa_exception_int_div_zero 0
	.end_amdhsa_kernel
	.section	.text._ZN9rocsparseL30gtsv_nopivot_pcr_stage2_kernelILj512EfEEviiiPKT0_S3_S3_S3_PS1_,"axG",@progbits,_ZN9rocsparseL30gtsv_nopivot_pcr_stage2_kernelILj512EfEEviiiPKT0_S3_S3_S3_PS1_,comdat
.Lfunc_end20:
	.size	_ZN9rocsparseL30gtsv_nopivot_pcr_stage2_kernelILj512EfEEviiiPKT0_S3_S3_S3_PS1_, .Lfunc_end20-_ZN9rocsparseL30gtsv_nopivot_pcr_stage2_kernelILj512EfEEviiiPKT0_S3_S3_S3_PS1_
                                        ; -- End function
	.set _ZN9rocsparseL30gtsv_nopivot_pcr_stage2_kernelILj512EfEEviiiPKT0_S3_S3_S3_PS1_.num_vgpr, 22
	.set _ZN9rocsparseL30gtsv_nopivot_pcr_stage2_kernelILj512EfEEviiiPKT0_S3_S3_S3_PS1_.num_agpr, 0
	.set _ZN9rocsparseL30gtsv_nopivot_pcr_stage2_kernelILj512EfEEviiiPKT0_S3_S3_S3_PS1_.numbered_sgpr, 18
	.set _ZN9rocsparseL30gtsv_nopivot_pcr_stage2_kernelILj512EfEEviiiPKT0_S3_S3_S3_PS1_.num_named_barrier, 0
	.set _ZN9rocsparseL30gtsv_nopivot_pcr_stage2_kernelILj512EfEEviiiPKT0_S3_S3_S3_PS1_.private_seg_size, 0
	.set _ZN9rocsparseL30gtsv_nopivot_pcr_stage2_kernelILj512EfEEviiiPKT0_S3_S3_S3_PS1_.uses_vcc, 1
	.set _ZN9rocsparseL30gtsv_nopivot_pcr_stage2_kernelILj512EfEEviiiPKT0_S3_S3_S3_PS1_.uses_flat_scratch, 0
	.set _ZN9rocsparseL30gtsv_nopivot_pcr_stage2_kernelILj512EfEEviiiPKT0_S3_S3_S3_PS1_.has_dyn_sized_stack, 0
	.set _ZN9rocsparseL30gtsv_nopivot_pcr_stage2_kernelILj512EfEEviiiPKT0_S3_S3_S3_PS1_.has_recursion, 0
	.set _ZN9rocsparseL30gtsv_nopivot_pcr_stage2_kernelILj512EfEEviiiPKT0_S3_S3_S3_PS1_.has_indirect_call, 0
	.section	.AMDGPU.csdata,"",@progbits
; Kernel info:
; codeLenInByte = 3040
; TotalNumSgprs: 22
; NumVgprs: 22
; ScratchSize: 0
; MemoryBound: 0
; FloatMode: 240
; IeeeMode: 1
; LDSByteSize: 10240 bytes/workgroup (compile time only)
; SGPRBlocks: 2
; VGPRBlocks: 5
; NumSGPRsForWavesPerEU: 22
; NumVGPRsForWavesPerEU: 22
; Occupancy: 10
; WaveLimiterHint : 0
; COMPUTE_PGM_RSRC2:SCRATCH_EN: 0
; COMPUTE_PGM_RSRC2:USER_SGPR: 6
; COMPUTE_PGM_RSRC2:TRAP_HANDLER: 0
; COMPUTE_PGM_RSRC2:TGID_X_EN: 1
; COMPUTE_PGM_RSRC2:TGID_Y_EN: 1
; COMPUTE_PGM_RSRC2:TGID_Z_EN: 0
; COMPUTE_PGM_RSRC2:TIDIG_COMP_CNT: 0
	.section	.text._ZN9rocsparseL35gtsv_nopivot_pcr_pow2_stage1_kernelILj256EfEEviiiiPKT0_S3_S3_S3_PS1_S4_S4_S4_,"axG",@progbits,_ZN9rocsparseL35gtsv_nopivot_pcr_pow2_stage1_kernelILj256EfEEviiiiPKT0_S3_S3_S3_PS1_S4_S4_S4_,comdat
	.globl	_ZN9rocsparseL35gtsv_nopivot_pcr_pow2_stage1_kernelILj256EfEEviiiiPKT0_S3_S3_S3_PS1_S4_S4_S4_ ; -- Begin function _ZN9rocsparseL35gtsv_nopivot_pcr_pow2_stage1_kernelILj256EfEEviiiiPKT0_S3_S3_S3_PS1_S4_S4_S4_
	.p2align	8
	.type	_ZN9rocsparseL35gtsv_nopivot_pcr_pow2_stage1_kernelILj256EfEEviiiiPKT0_S3_S3_S3_PS1_S4_S4_S4_,@function
_ZN9rocsparseL35gtsv_nopivot_pcr_pow2_stage1_kernelILj256EfEEviiiiPKT0_S3_S3_S3_PS1_S4_S4_S4_: ; @_ZN9rocsparseL35gtsv_nopivot_pcr_pow2_stage1_kernelILj256EfEEviiiiPKT0_S3_S3_S3_PS1_S4_S4_S4_
; %bb.0:
	s_load_dwordx8 s[8:15], s[4:5], 0x0
	v_lshl_or_b32 v4, s6, 8, v0
	v_ashrrev_i32_e32 v5, 31, v4
	v_mov_b32_e32 v3, 0
	s_waitcnt lgkmcnt(0)
	v_subrev_u32_e32 v0, s8, v4
	v_max_i32_e32 v2, 0, v0
	v_lshlrev_b64 v[0:1], 2, v[4:5]
	v_mov_b32_e32 v10, s13
	v_add_co_u32_e32 v5, vcc, s12, v0
	v_lshlrev_b64 v[2:3], 2, v[2:3]
	v_addc_co_u32_e32 v6, vcc, v10, v1, vcc
	global_load_dword v11, v[5:6], off
	v_mov_b32_e32 v8, s15
	v_add_co_u32_e32 v5, vcc, s14, v2
	v_addc_co_u32_e32 v6, vcc, v8, v3, vcc
	global_load_dword v12, v[5:6], off
	s_load_dwordx2 s[0:1], s[4:5], 0x20
	s_load_dwordx4 s[16:19], s[4:5], 0x30
	v_add_u32_e32 v4, s8, v4
	s_add_i32 s2, s9, -1
	v_min_i32_e32 v4, s2, v4
	s_waitcnt lgkmcnt(0)
	v_mov_b32_e32 v13, s1
	v_add_co_u32_e32 v5, vcc, s0, v0
	v_addc_co_u32_e32 v6, vcc, v13, v1, vcc
	global_load_dword v14, v[5:6], off
	v_ashrrev_i32_e32 v5, 31, v4
	v_lshlrev_b64 v[4:5], 2, v[4:5]
	s_cmp_lt_i32 s10, 1
	v_add_co_u32_e32 v6, vcc, s14, v4
	v_addc_co_u32_e32 v7, vcc, v8, v5, vcc
	global_load_dword v15, v[6:7], off
	v_add_co_u32_e32 v6, vcc, s14, v0
	v_addc_co_u32_e32 v7, vcc, v8, v1, vcc
	global_load_dword v16, v[6:7], off
	v_add_co_u32_e32 v6, vcc, s12, v2
	v_addc_co_u32_e32 v7, vcc, v10, v3, vcc
	v_add_co_u32_e32 v8, vcc, s0, v2
	v_addc_co_u32_e32 v9, vcc, v13, v3, vcc
	global_load_dword v17, v[6:7], off
	v_add_co_u32_e32 v6, vcc, s0, v4
	v_addc_co_u32_e32 v7, vcc, v13, v5, vcc
	global_load_dword v18, v[8:9], off
	;; [unrolled: 3-line block ×3, first 2 shown]
	global_load_dword v20, v[6:7], off
	s_waitcnt vmcnt(7)
	v_div_scale_f32 v6, s[0:1], v12, v12, v11
	v_div_scale_f32 v7, vcc, v11, v12, v11
	v_rcp_f32_e32 v8, v6
	v_fma_f32 v9, -v6, v8, 1.0
	v_fmac_f32_e32 v8, v9, v8
	v_mul_f32_e32 v9, v7, v8
	v_fma_f32 v10, -v6, v9, v7
	v_fmac_f32_e32 v9, v10, v8
	s_waitcnt vmcnt(5)
	v_div_scale_f32 v10, s[0:1], v15, v15, v14
	v_fma_f32 v6, -v6, v9, v7
	v_div_scale_f32 v7, s[0:1], v14, v15, v14
	v_div_fmas_f32 v8, v6, v8, v9
	s_mov_b64 vcc, s[0:1]
	s_load_dwordx2 s[0:1], s[4:5], 0x40
	v_rcp_f32_e32 v6, v10
	v_fma_f32 v9, -v10, v6, 1.0
	v_fmac_f32_e32 v6, v9, v6
	v_mul_f32_e32 v9, v7, v6
	v_fma_f32 v13, -v10, v9, v7
	v_fmac_f32_e32 v9, v13, v6
	v_fma_f32 v7, -v10, v9, v7
	v_div_fmas_f32 v9, v7, v6, v9
	v_mov_b32_e32 v7, s19
	v_add_co_u32_e32 v6, vcc, s18, v0
	v_addc_co_u32_e32 v7, vcc, v7, v1, vcc
	v_mov_b32_e32 v13, s17
	v_div_fixup_f32 v8, v8, v12, v11
	v_add_co_u32_e32 v10, vcc, s16, v0
	v_addc_co_u32_e32 v11, vcc, v13, v1, vcc
	s_waitcnt lgkmcnt(0)
	v_mov_b32_e32 v13, s1
	v_add_co_u32_e32 v12, vcc, s0, v0
	v_addc_co_u32_e32 v13, vcc, v13, v1, vcc
	v_div_fixup_f32 v9, v9, v15, v14
	s_waitcnt vmcnt(2)
	v_fma_f32 v14, -v8, v18, v16
	v_mul_f32_e64 v15, v8, -v17
	s_waitcnt vmcnt(1)
	v_fma_f32 v14, -v9, v19, v14
	global_store_dword v[10:11], v15, off
	s_waitcnt vmcnt(1)
	v_mul_f32_e64 v10, v9, -v20
	global_store_dword v[6:7], v14, off
	global_store_dword v[12:13], v10, off
	s_cbranch_scc1 .LBB21_3
; %bb.1:
	s_load_dwordx2 s[0:1], s[4:5], 0x48
	s_load_dwordx2 s[6:7], s[4:5], 0x28
	s_waitcnt lgkmcnt(0)
	v_mov_b32_e32 v7, s1
	v_add_co_u32_e32 v6, vcc, s0, v0
	s_ashr_i32 s1, s9, 31
	s_mov_b32 s0, s9
	s_lshl_b64 s[4:5], s[0:1], 2
	s_ashr_i32 s1, s11, 31
	s_mov_b32 s0, s11
	v_addc_co_u32_e32 v7, vcc, v7, v1, vcc
	s_lshl_b64 s[8:9], s[0:1], 2
.LBB21_2:                               ; =>This Inner Loop Header: Depth=1
	v_mov_b32_e32 v13, s7
	v_add_co_u32_e32 v10, vcc, s6, v2
	v_add_co_u32_e64 v12, s[0:1], s6, v0
	v_add_co_u32_e64 v14, s[2:3], s6, v4
	v_addc_co_u32_e32 v11, vcc, v13, v3, vcc
	v_addc_co_u32_e64 v15, s[2:3], v13, v5, s[2:3]
	v_addc_co_u32_e64 v13, vcc, v13, v1, s[0:1]
	global_load_dword v16, v[10:11], off
	global_load_dword v17, v[12:13], off
	;; [unrolled: 1-line block ×3, first 2 shown]
	s_add_i32 s10, s10, -1
	s_add_u32 s6, s6, s8
	v_mov_b32_e32 v10, s5
	s_addc_u32 s7, s7, s9
	s_cmp_eq_u32 s10, 0
	s_waitcnt vmcnt(1)
	v_fma_f32 v11, -v8, v16, v17
	s_waitcnt vmcnt(0)
	v_fma_f32 v11, -v9, v18, v11
	global_store_dword v[6:7], v11, off
	v_add_co_u32_e32 v6, vcc, s4, v6
	v_addc_co_u32_e32 v7, vcc, v7, v10, vcc
	s_cbranch_scc0 .LBB21_2
.LBB21_3:
	s_endpgm
	.section	.rodata,"a",@progbits
	.p2align	6, 0x0
	.amdhsa_kernel _ZN9rocsparseL35gtsv_nopivot_pcr_pow2_stage1_kernelILj256EfEEviiiiPKT0_S3_S3_S3_PS1_S4_S4_S4_
		.amdhsa_group_segment_fixed_size 0
		.amdhsa_private_segment_fixed_size 0
		.amdhsa_kernarg_size 80
		.amdhsa_user_sgpr_count 6
		.amdhsa_user_sgpr_private_segment_buffer 1
		.amdhsa_user_sgpr_dispatch_ptr 0
		.amdhsa_user_sgpr_queue_ptr 0
		.amdhsa_user_sgpr_kernarg_segment_ptr 1
		.amdhsa_user_sgpr_dispatch_id 0
		.amdhsa_user_sgpr_flat_scratch_init 0
		.amdhsa_user_sgpr_private_segment_size 0
		.amdhsa_uses_dynamic_stack 0
		.amdhsa_system_sgpr_private_segment_wavefront_offset 0
		.amdhsa_system_sgpr_workgroup_id_x 1
		.amdhsa_system_sgpr_workgroup_id_y 0
		.amdhsa_system_sgpr_workgroup_id_z 0
		.amdhsa_system_sgpr_workgroup_info 0
		.amdhsa_system_vgpr_workitem_id 0
		.amdhsa_next_free_vgpr 21
		.amdhsa_next_free_sgpr 20
		.amdhsa_reserve_vcc 1
		.amdhsa_reserve_flat_scratch 0
		.amdhsa_float_round_mode_32 0
		.amdhsa_float_round_mode_16_64 0
		.amdhsa_float_denorm_mode_32 3
		.amdhsa_float_denorm_mode_16_64 3
		.amdhsa_dx10_clamp 1
		.amdhsa_ieee_mode 1
		.amdhsa_fp16_overflow 0
		.amdhsa_exception_fp_ieee_invalid_op 0
		.amdhsa_exception_fp_denorm_src 0
		.amdhsa_exception_fp_ieee_div_zero 0
		.amdhsa_exception_fp_ieee_overflow 0
		.amdhsa_exception_fp_ieee_underflow 0
		.amdhsa_exception_fp_ieee_inexact 0
		.amdhsa_exception_int_div_zero 0
	.end_amdhsa_kernel
	.section	.text._ZN9rocsparseL35gtsv_nopivot_pcr_pow2_stage1_kernelILj256EfEEviiiiPKT0_S3_S3_S3_PS1_S4_S4_S4_,"axG",@progbits,_ZN9rocsparseL35gtsv_nopivot_pcr_pow2_stage1_kernelILj256EfEEviiiiPKT0_S3_S3_S3_PS1_S4_S4_S4_,comdat
.Lfunc_end21:
	.size	_ZN9rocsparseL35gtsv_nopivot_pcr_pow2_stage1_kernelILj256EfEEviiiiPKT0_S3_S3_S3_PS1_S4_S4_S4_, .Lfunc_end21-_ZN9rocsparseL35gtsv_nopivot_pcr_pow2_stage1_kernelILj256EfEEviiiiPKT0_S3_S3_S3_PS1_S4_S4_S4_
                                        ; -- End function
	.set _ZN9rocsparseL35gtsv_nopivot_pcr_pow2_stage1_kernelILj256EfEEviiiiPKT0_S3_S3_S3_PS1_S4_S4_S4_.num_vgpr, 21
	.set _ZN9rocsparseL35gtsv_nopivot_pcr_pow2_stage1_kernelILj256EfEEviiiiPKT0_S3_S3_S3_PS1_S4_S4_S4_.num_agpr, 0
	.set _ZN9rocsparseL35gtsv_nopivot_pcr_pow2_stage1_kernelILj256EfEEviiiiPKT0_S3_S3_S3_PS1_S4_S4_S4_.numbered_sgpr, 20
	.set _ZN9rocsparseL35gtsv_nopivot_pcr_pow2_stage1_kernelILj256EfEEviiiiPKT0_S3_S3_S3_PS1_S4_S4_S4_.num_named_barrier, 0
	.set _ZN9rocsparseL35gtsv_nopivot_pcr_pow2_stage1_kernelILj256EfEEviiiiPKT0_S3_S3_S3_PS1_S4_S4_S4_.private_seg_size, 0
	.set _ZN9rocsparseL35gtsv_nopivot_pcr_pow2_stage1_kernelILj256EfEEviiiiPKT0_S3_S3_S3_PS1_S4_S4_S4_.uses_vcc, 1
	.set _ZN9rocsparseL35gtsv_nopivot_pcr_pow2_stage1_kernelILj256EfEEviiiiPKT0_S3_S3_S3_PS1_S4_S4_S4_.uses_flat_scratch, 0
	.set _ZN9rocsparseL35gtsv_nopivot_pcr_pow2_stage1_kernelILj256EfEEviiiiPKT0_S3_S3_S3_PS1_S4_S4_S4_.has_dyn_sized_stack, 0
	.set _ZN9rocsparseL35gtsv_nopivot_pcr_pow2_stage1_kernelILj256EfEEviiiiPKT0_S3_S3_S3_PS1_S4_S4_S4_.has_recursion, 0
	.set _ZN9rocsparseL35gtsv_nopivot_pcr_pow2_stage1_kernelILj256EfEEviiiiPKT0_S3_S3_S3_PS1_S4_S4_S4_.has_indirect_call, 0
	.section	.AMDGPU.csdata,"",@progbits
; Kernel info:
; codeLenInByte = 724
; TotalNumSgprs: 24
; NumVgprs: 21
; ScratchSize: 0
; MemoryBound: 0
; FloatMode: 240
; IeeeMode: 1
; LDSByteSize: 0 bytes/workgroup (compile time only)
; SGPRBlocks: 2
; VGPRBlocks: 5
; NumSGPRsForWavesPerEU: 24
; NumVGPRsForWavesPerEU: 21
; Occupancy: 10
; WaveLimiterHint : 0
; COMPUTE_PGM_RSRC2:SCRATCH_EN: 0
; COMPUTE_PGM_RSRC2:USER_SGPR: 6
; COMPUTE_PGM_RSRC2:TRAP_HANDLER: 0
; COMPUTE_PGM_RSRC2:TGID_X_EN: 1
; COMPUTE_PGM_RSRC2:TGID_Y_EN: 0
; COMPUTE_PGM_RSRC2:TGID_Z_EN: 0
; COMPUTE_PGM_RSRC2:TIDIG_COMP_CNT: 0
	.section	.text._ZN9rocsparseL38gtsv_nopivot_thomas_pow2_stage2_kernelILj256ELj512EfEEviiiiPKT1_S3_S3_S3_PS1_S4_S4_S4_S4_,"axG",@progbits,_ZN9rocsparseL38gtsv_nopivot_thomas_pow2_stage2_kernelILj256ELj512EfEEviiiiPKT1_S3_S3_S3_PS1_S4_S4_S4_S4_,comdat
	.globl	_ZN9rocsparseL38gtsv_nopivot_thomas_pow2_stage2_kernelILj256ELj512EfEEviiiiPKT1_S3_S3_S3_PS1_S4_S4_S4_S4_ ; -- Begin function _ZN9rocsparseL38gtsv_nopivot_thomas_pow2_stage2_kernelILj256ELj512EfEEviiiiPKT1_S3_S3_S3_PS1_S4_S4_S4_S4_
	.p2align	8
	.type	_ZN9rocsparseL38gtsv_nopivot_thomas_pow2_stage2_kernelILj256ELj512EfEEviiiiPKT1_S3_S3_S3_PS1_S4_S4_S4_S4_,@function
_ZN9rocsparseL38gtsv_nopivot_thomas_pow2_stage2_kernelILj256ELj512EfEEviiiiPKT1_S3_S3_S3_PS1_S4_S4_S4_S4_: ; @_ZN9rocsparseL38gtsv_nopivot_thomas_pow2_stage2_kernelILj256ELj512EfEEviiiiPKT1_S3_S3_S3_PS1_S4_S4_S4_S4_
; %bb.0:
	s_load_dwordx2 s[20:21], s[4:5], 0x0
	s_lshl_b32 s6, s6, 8
	v_or_b32_e32 v3, s6, v0
	s_waitcnt lgkmcnt(0)
	v_cmp_gt_i32_e32 vcc, s20, v3
	s_and_saveexec_b64 s[0:1], vcc
	s_cbranch_execz .LBB22_9
; %bb.1:
	s_load_dwordx8 s[8:15], s[4:5], 0x10
	v_ashrrev_i32_e32 v4, 31, v3
	v_lshlrev_b64 v[1:2], 2, v[3:4]
	v_mov_b32_e32 v9, 0
	s_waitcnt lgkmcnt(0)
	v_mov_b32_e32 v5, s13
	v_add_co_u32_e32 v4, vcc, s12, v1
	s_mul_i32 s12, s21, s7
	v_addc_co_u32_e32 v5, vcc, v5, v2, vcc
	v_add_u32_e32 v8, s12, v3
	v_mov_b32_e32 v7, s11
	v_add_co_u32_e32 v6, vcc, s10, v1
	v_lshlrev_b64 v[13:14], 2, v[8:9]
	v_addc_co_u32_e32 v7, vcc, v7, v2, vcc
	global_load_dword v16, v[4:5], off
	global_load_dword v19, v[6:7], off
	v_mov_b32_e32 v8, s15
	v_add_co_u32_e32 v10, vcc, s14, v13
	v_addc_co_u32_e32 v11, vcc, v8, v14, vcc
	global_load_dword v8, v[10:11], off
	s_load_dwordx4 s[16:19], s[4:5], 0x40
	s_load_dwordx2 s[2:3], s[4:5], 0x50
	s_add_i32 s10, s6, s20
	s_lshl_b32 s13, s20, 1
	s_mov_b32 s21, 0
	s_waitcnt vmcnt(1)
	v_div_scale_f32 v10, s[0:1], v19, v19, v16
	v_div_scale_f32 v12, vcc, v16, v19, v16
	s_waitcnt vmcnt(0)
	v_div_scale_f32 v11, s[0:1], v19, v19, v8
	v_div_scale_f32 v15, s[0:1], v8, v19, v8
	v_rcp_f32_e32 v17, v10
	v_fma_f32 v20, -v10, v17, 1.0
	v_fmac_f32_e32 v17, v20, v17
	v_rcp_f32_e32 v18, v11
	v_mul_f32_e32 v20, v12, v17
	v_fma_f32 v21, -v11, v18, 1.0
	v_fmac_f32_e32 v18, v21, v18
	v_fma_f32 v21, -v10, v20, v12
	v_fmac_f32_e32 v20, v21, v17
	v_mul_f32_e32 v21, v15, v18
	v_fma_f32 v22, -v11, v21, v15
	v_fmac_f32_e32 v21, v22, v18
	v_fma_f32 v12, -v10, v20, v12
	v_fma_f32 v15, -v11, v21, v15
	v_div_fmas_f32 v20, v12, v17, v20
	s_mov_b64 vcc, s[0:1]
	v_div_fmas_f32 v21, v15, v18, v21
	s_waitcnt lgkmcnt(0)
	v_mov_b32_e32 v15, s17
	v_add_co_u32_e32 v1, vcc, s16, v1
	v_add_u32_e32 v10, s12, v0
	v_addc_co_u32_e32 v2, vcc, v15, v2, vcc
	v_add_u32_e32 v12, s10, v0
	v_mov_b32_e32 v15, s19
	v_add_co_u32_e32 v17, vcc, s18, v13
	v_add_u32_e32 v13, s6, v10
	v_add_u32_e32 v11, s13, v3
	v_addc_co_u32_e32 v18, vcc, v15, v14, vcc
	v_add_u32_e32 v14, s12, v12
	v_add_u32_e32 v15, s13, v13
	v_div_fixup_f32 v16, v20, v19, v16
	s_movk_i32 s16, 0x1fe
	v_div_fixup_f32 v8, v21, v19, v8
	global_store_dword v[1:2], v16, off
	global_store_dword v[17:18], v8, off
	s_branch .LBB22_3
.LBB22_2:
                                        ; implicit-def: $sgpr21
                                        ; implicit-def: $sgpr16
                                        ; implicit-def: $vgpr16
	s_branch .LBB22_5
.LBB22_3:                               ; =>This Inner Loop Header: Depth=1
	v_add_u32_e32 v17, s21, v12
	v_ashrrev_i32_e32 v18, 31, v17
	v_lshlrev_b64 v[17:18], 2, v[17:18]
	v_mov_b32_e32 v8, s9
	v_add_co_u32_e32 v17, vcc, s8, v17
	v_addc_co_u32_e32 v18, vcc, v8, v18, vcc
	v_add_u32_e32 v8, s21, v14
	v_lshlrev_b64 v[19:20], 2, v[8:9]
	v_add_u32_e32 v8, s21, v13
	v_lshlrev_b64 v[21:22], 2, v[8:9]
	v_mov_b32_e32 v25, s19
	v_add_co_u32_e32 v21, vcc, s18, v21
	v_addc_co_u32_e32 v22, vcc, v25, v22, vcc
	v_mov_b32_e32 v8, s15
	v_add_co_u32_e32 v23, vcc, s14, v19
	v_addc_co_u32_e32 v24, vcc, v8, v20, vcc
	s_add_i32 s0, s20, s21
	v_add_co_u32_e32 v19, vcc, s18, v19
	s_ashr_i32 s1, s0, 31
	v_addc_co_u32_e32 v20, vcc, v25, v20, vcc
	s_lshl_b64 s[0:1], s[0:1], 2
	v_mov_b32_e32 v8, s1
	v_add_co_u32_e32 v25, vcc, s0, v6
	v_addc_co_u32_e32 v26, vcc, v7, v8, vcc
	global_load_dword v25, v[25:26], off
	s_nop 0
	global_load_dword v26, v[17:18], off
	global_load_dword v27, v[23:24], off
                                        ; kill: killed $vgpr23 killed $vgpr24
                                        ; kill: killed $vgpr17 killed $vgpr18
	s_nop 0
	global_load_dword v17, v[21:22], off
	s_cmp_eq_u32 s16, 0
	s_waitcnt vmcnt(2)
	v_fma_f32 v18, -v16, v26, v25
	v_div_scale_f32 v16, s[10:11], v18, v18, 1.0
	s_waitcnt vmcnt(0)
	v_fma_f32 v23, -v26, v17, v27
	v_rcp_f32_e32 v17, v16
	v_fma_f32 v21, -v16, v17, 1.0
	v_fmac_f32_e32 v17, v21, v17
	v_div_scale_f32 v21, vcc, 1.0, v18, 1.0
	v_mul_f32_e32 v22, v21, v17
	v_fma_f32 v24, -v16, v22, v21
	v_fmac_f32_e32 v22, v24, v17
	v_fma_f32 v16, -v16, v22, v21
	v_div_fmas_f32 v24, v16, v17, v22
	v_add_co_u32_e32 v16, vcc, s0, v4
	v_addc_co_u32_e32 v17, vcc, v5, v8, vcc
	global_load_dword v16, v[16:17], off
	v_add_co_u32_e32 v21, vcc, s0, v1
	v_addc_co_u32_e32 v22, vcc, v2, v8, vcc
	v_div_fixup_f32 v8, v24, v18, 1.0
	s_waitcnt vmcnt(0)
	v_mul_f32_e32 v17, v16, v8
	v_mul_f32_e32 v16, v8, v23
	global_store_dword v[21:22], v17, off
	global_store_dword v[19:20], v16, off
	s_cbranch_scc1 .LBB22_2
; %bb.4:                                ;   in Loop: Header=BB22_3 Depth=1
	s_add_i32 s0, s13, s21
	v_add_u32_e32 v18, s21, v11
	s_ashr_i32 s1, s0, 31
	v_ashrrev_i32_e32 v19, 31, v18
	s_lshl_b64 s[22:23], s[0:1], 2
	v_mov_b32_e32 v22, s23
	v_add_co_u32_e32 v20, vcc, s22, v6
	v_lshlrev_b64 v[18:19], 2, v[18:19]
	v_addc_co_u32_e32 v21, vcc, v7, v22, vcc
	v_mov_b32_e32 v8, s9
	v_add_co_u32_e32 v18, vcc, s8, v18
	v_addc_co_u32_e32 v19, vcc, v8, v19, vcc
	global_load_dword v23, v[20:21], off
	global_load_dword v24, v[18:19], off
	v_add_u32_e32 v8, s21, v15
	v_lshlrev_b64 v[18:19], 2, v[8:9]
	v_mov_b32_e32 v21, s15
	v_add_co_u32_e32 v20, vcc, s14, v18
	v_addc_co_u32_e32 v21, vcc, v21, v19, vcc
	global_load_dword v8, v[20:21], off
	v_add_co_u32_e32 v20, vcc, s22, v4
	v_addc_co_u32_e32 v21, vcc, v5, v22, vcc
	global_load_dword v21, v[20:21], off
	s_add_i32 s16, s16, -2
	s_mov_b32 s21, s0
	s_waitcnt vmcnt(2)
	v_fma_f32 v23, -v17, v24, v23
	v_div_scale_f32 v17, s[10:11], v23, v23, 1.0
	v_div_scale_f32 v20, vcc, 1.0, v23, 1.0
	s_waitcnt vmcnt(1)
	v_fma_f32 v8, -v24, v16, v8
	v_rcp_f32_e32 v25, v17
	v_fma_f32 v26, -v17, v25, 1.0
	v_fmac_f32_e32 v25, v26, v25
	v_mul_f32_e32 v26, v20, v25
	v_fma_f32 v27, -v17, v26, v20
	v_fmac_f32_e32 v26, v27, v25
	v_fma_f32 v17, -v17, v26, v20
	v_div_fmas_f32 v25, v17, v25, v26
	v_mov_b32_e32 v20, s19
	v_add_co_u32_e32 v17, vcc, s18, v18
	v_addc_co_u32_e32 v18, vcc, v20, v19, vcc
	v_add_co_u32_e32 v19, vcc, s22, v1
	v_addc_co_u32_e32 v20, vcc, v2, v22, vcc
	v_div_fixup_f32 v22, v25, v23, 1.0
	s_waitcnt vmcnt(0)
	v_mul_f32_e32 v16, v21, v22
	v_mul_f32_e32 v8, v22, v8
	global_store_dword v[19:20], v16, off
	global_store_dword v[17:18], v8, off
	s_cbranch_execnz .LBB22_3
.LBB22_5:
	s_mul_i32 s0, s20, 0x1ff
	v_add_u32_e32 v11, s0, v3
	v_add_u32_e32 v3, s12, v11
	v_mov_b32_e32 v4, 0
	v_lshlrev_b64 v[6:7], 2, v[3:4]
	v_mov_b32_e32 v5, s19
	v_add_co_u32_e32 v6, vcc, s18, v6
	v_addc_co_u32_e32 v7, vcc, v5, v7, vcc
	global_load_dword v17, v[6:7], off
	s_load_dword s1, s[4:5], 0xc
	s_mul_i32 s4, s20, 0x1fe
	s_mul_i32 s8, s20, 0x1fc
	;; [unrolled: 1-line block ×4, first 2 shown]
	s_waitcnt lgkmcnt(0)
	s_mul_i32 s1, s1, s7
	v_add_u32_e32 v3, s1, v11
	v_lshlrev_b64 v[15:16], 2, v[3:4]
	v_mov_b32_e32 v6, s3
	s_add_i32 s12, s6, s4
	s_add_i32 s13, s6, s8
	;; [unrolled: 1-line block ×5, first 2 shown]
	v_add_u32_e32 v14, s1, v0
	v_add_co_u32_e32 v15, vcc, s2, v15
	s_lshl_b32 s5, s20, 2
	s_movk_i32 s11, 0xfe04
	v_add_u32_e32 v7, s13, v10
	v_add_u32_e32 v8, s15, v10
	;; [unrolled: 1-line block ×9, first 2 shown]
	v_addc_co_u32_e32 v16, vcc, v6, v16, vcc
	s_mov_b32 s6, 0
	s_waitcnt vmcnt(0)
	global_store_dword v[15:16], v17, off
	s_branch .LBB22_7
.LBB22_6:                               ;   in Loop: Header=BB22_7 Depth=1
	v_add_u32_e32 v3, s6, v8
	v_lshlrev_b64 v[16:17], 2, v[3:4]
	s_add_i32 s0, s10, s6
	v_mov_b32_e32 v3, s19
	v_add_co_u32_e32 v16, vcc, s18, v16
	s_ashr_i32 s1, s0, 31
	v_addc_co_u32_e32 v17, vcc, v3, v17, vcc
	s_lshl_b64 s[0:1], s[0:1], 2
	global_load_dword v18, v[16:17], off
	v_mov_b32_e32 v3, s1
	v_add_co_u32_e32 v16, vcc, s0, v1
	v_addc_co_u32_e32 v17, vcc, v2, v3, vcc
	global_load_dword v19, v[16:17], off
	v_add_u32_e32 v3, s6, v13
	v_lshlrev_b64 v[16:17], 2, v[3:4]
	v_mov_b32_e32 v20, s3
	v_add_co_u32_e32 v16, vcc, s2, v16
	s_add_i32 s11, s11, 4
	s_sub_i32 s6, s6, s5
	v_addc_co_u32_e32 v17, vcc, v20, v17, vcc
	s_waitcnt vmcnt(0)
	v_fma_f32 v3, -v19, v15, v18
	global_store_dword v[16:17], v3, off
	s_cbranch_execz .LBB22_9
.LBB22_7:                               ; =>This Inner Loop Header: Depth=1
	v_add_u32_e32 v3, s6, v10
	v_lshlrev_b64 v[15:16], 2, v[3:4]
	s_add_i32 s0, s4, s6
	v_add_co_u32_e32 v15, vcc, s18, v15
	s_ashr_i32 s1, s0, 31
	v_addc_co_u32_e32 v16, vcc, v5, v16, vcc
	s_lshl_b64 s[0:1], s[0:1], 2
	global_load_dword v17, v[15:16], off
	v_add_co_u32_e32 v15, vcc, s0, v1
	v_mov_b32_e32 v3, s1
	v_addc_co_u32_e32 v16, vcc, v2, v3, vcc
	v_add_u32_e32 v3, s6, v14
	global_load_dword v18, v[15:16], off
	v_lshlrev_b64 v[15:16], 2, v[3:4]
	s_add_i32 s0, s9, s6
	v_add_co_u32_e32 v15, vcc, s2, v15
	v_addc_co_u32_e32 v16, vcc, v6, v16, vcc
	global_load_dword v3, v[15:16], off
	s_ashr_i32 s1, s0, 31
	s_lshl_b64 s[0:1], s[0:1], 2
	s_waitcnt vmcnt(0)
	v_fma_f32 v17, -v18, v3, v17
	v_add_u32_e32 v3, s6, v0
	v_lshlrev_b64 v[15:16], 2, v[3:4]
	v_add_u32_e32 v3, s6, v9
	v_add_co_u32_e32 v15, vcc, s2, v15
	v_addc_co_u32_e32 v16, vcc, v6, v16, vcc
	global_store_dword v[15:16], v17, off
	v_lshlrev_b64 v[15:16], 2, v[3:4]
	v_add_co_u32_e32 v15, vcc, s18, v15
	v_addc_co_u32_e32 v16, vcc, v5, v16, vcc
	global_load_dword v3, v[15:16], off
	v_add_co_u32_e32 v15, vcc, s0, v1
	v_mov_b32_e32 v16, s1
	v_addc_co_u32_e32 v16, vcc, v2, v16, vcc
	global_load_dword v15, v[15:16], off
	s_add_i32 s0, s8, s6
	s_ashr_i32 s1, s0, 31
	s_lshl_b64 s[0:1], s[0:1], 2
	s_cmp_eq_u32 s11, 0
	s_waitcnt vmcnt(0)
	v_fma_f32 v17, -v15, v17, v3
	v_add_u32_e32 v3, s6, v12
	v_lshlrev_b64 v[15:16], 2, v[3:4]
	v_add_u32_e32 v3, s6, v7
	v_add_co_u32_e32 v15, vcc, s2, v15
	v_addc_co_u32_e32 v16, vcc, v6, v16, vcc
	global_store_dword v[15:16], v17, off
	v_lshlrev_b64 v[15:16], 2, v[3:4]
	v_add_co_u32_e32 v15, vcc, s18, v15
	v_addc_co_u32_e32 v16, vcc, v5, v16, vcc
	global_load_dword v3, v[15:16], off
	v_add_co_u32_e32 v15, vcc, s0, v1
	v_mov_b32_e32 v16, s1
	v_addc_co_u32_e32 v16, vcc, v2, v16, vcc
	global_load_dword v15, v[15:16], off
	s_waitcnt vmcnt(0)
	v_fma_f32 v15, -v15, v17, v3
	v_add_u32_e32 v3, s6, v11
	v_lshlrev_b64 v[16:17], 2, v[3:4]
	v_add_co_u32_e32 v16, vcc, s2, v16
	v_addc_co_u32_e32 v17, vcc, v6, v17, vcc
	global_store_dword v[16:17], v15, off
	s_cbranch_scc0 .LBB22_6
; %bb.8:
                                        ; implicit-def: $sgpr11
                                        ; implicit-def: $sgpr6
.LBB22_9:
	s_endpgm
	.section	.rodata,"a",@progbits
	.p2align	6, 0x0
	.amdhsa_kernel _ZN9rocsparseL38gtsv_nopivot_thomas_pow2_stage2_kernelILj256ELj512EfEEviiiiPKT1_S3_S3_S3_PS1_S4_S4_S4_S4_
		.amdhsa_group_segment_fixed_size 0
		.amdhsa_private_segment_fixed_size 0
		.amdhsa_kernarg_size 88
		.amdhsa_user_sgpr_count 6
		.amdhsa_user_sgpr_private_segment_buffer 1
		.amdhsa_user_sgpr_dispatch_ptr 0
		.amdhsa_user_sgpr_queue_ptr 0
		.amdhsa_user_sgpr_kernarg_segment_ptr 1
		.amdhsa_user_sgpr_dispatch_id 0
		.amdhsa_user_sgpr_flat_scratch_init 0
		.amdhsa_user_sgpr_private_segment_size 0
		.amdhsa_uses_dynamic_stack 0
		.amdhsa_system_sgpr_private_segment_wavefront_offset 0
		.amdhsa_system_sgpr_workgroup_id_x 1
		.amdhsa_system_sgpr_workgroup_id_y 1
		.amdhsa_system_sgpr_workgroup_id_z 0
		.amdhsa_system_sgpr_workgroup_info 0
		.amdhsa_system_vgpr_workitem_id 0
		.amdhsa_next_free_vgpr 28
		.amdhsa_next_free_sgpr 24
		.amdhsa_reserve_vcc 1
		.amdhsa_reserve_flat_scratch 0
		.amdhsa_float_round_mode_32 0
		.amdhsa_float_round_mode_16_64 0
		.amdhsa_float_denorm_mode_32 3
		.amdhsa_float_denorm_mode_16_64 3
		.amdhsa_dx10_clamp 1
		.amdhsa_ieee_mode 1
		.amdhsa_fp16_overflow 0
		.amdhsa_exception_fp_ieee_invalid_op 0
		.amdhsa_exception_fp_denorm_src 0
		.amdhsa_exception_fp_ieee_div_zero 0
		.amdhsa_exception_fp_ieee_overflow 0
		.amdhsa_exception_fp_ieee_underflow 0
		.amdhsa_exception_fp_ieee_inexact 0
		.amdhsa_exception_int_div_zero 0
	.end_amdhsa_kernel
	.section	.text._ZN9rocsparseL38gtsv_nopivot_thomas_pow2_stage2_kernelILj256ELj512EfEEviiiiPKT1_S3_S3_S3_PS1_S4_S4_S4_S4_,"axG",@progbits,_ZN9rocsparseL38gtsv_nopivot_thomas_pow2_stage2_kernelILj256ELj512EfEEviiiiPKT1_S3_S3_S3_PS1_S4_S4_S4_S4_,comdat
.Lfunc_end22:
	.size	_ZN9rocsparseL38gtsv_nopivot_thomas_pow2_stage2_kernelILj256ELj512EfEEviiiiPKT1_S3_S3_S3_PS1_S4_S4_S4_S4_, .Lfunc_end22-_ZN9rocsparseL38gtsv_nopivot_thomas_pow2_stage2_kernelILj256ELj512EfEEviiiiPKT1_S3_S3_S3_PS1_S4_S4_S4_S4_
                                        ; -- End function
	.set _ZN9rocsparseL38gtsv_nopivot_thomas_pow2_stage2_kernelILj256ELj512EfEEviiiiPKT1_S3_S3_S3_PS1_S4_S4_S4_S4_.num_vgpr, 28
	.set _ZN9rocsparseL38gtsv_nopivot_thomas_pow2_stage2_kernelILj256ELj512EfEEviiiiPKT1_S3_S3_S3_PS1_S4_S4_S4_S4_.num_agpr, 0
	.set _ZN9rocsparseL38gtsv_nopivot_thomas_pow2_stage2_kernelILj256ELj512EfEEviiiiPKT1_S3_S3_S3_PS1_S4_S4_S4_S4_.numbered_sgpr, 24
	.set _ZN9rocsparseL38gtsv_nopivot_thomas_pow2_stage2_kernelILj256ELj512EfEEviiiiPKT1_S3_S3_S3_PS1_S4_S4_S4_S4_.num_named_barrier, 0
	.set _ZN9rocsparseL38gtsv_nopivot_thomas_pow2_stage2_kernelILj256ELj512EfEEviiiiPKT1_S3_S3_S3_PS1_S4_S4_S4_S4_.private_seg_size, 0
	.set _ZN9rocsparseL38gtsv_nopivot_thomas_pow2_stage2_kernelILj256ELj512EfEEviiiiPKT1_S3_S3_S3_PS1_S4_S4_S4_S4_.uses_vcc, 1
	.set _ZN9rocsparseL38gtsv_nopivot_thomas_pow2_stage2_kernelILj256ELj512EfEEviiiiPKT1_S3_S3_S3_PS1_S4_S4_S4_S4_.uses_flat_scratch, 0
	.set _ZN9rocsparseL38gtsv_nopivot_thomas_pow2_stage2_kernelILj256ELj512EfEEviiiiPKT1_S3_S3_S3_PS1_S4_S4_S4_S4_.has_dyn_sized_stack, 0
	.set _ZN9rocsparseL38gtsv_nopivot_thomas_pow2_stage2_kernelILj256ELj512EfEEviiiiPKT1_S3_S3_S3_PS1_S4_S4_S4_S4_.has_recursion, 0
	.set _ZN9rocsparseL38gtsv_nopivot_thomas_pow2_stage2_kernelILj256ELj512EfEEviiiiPKT1_S3_S3_S3_PS1_S4_S4_S4_S4_.has_indirect_call, 0
	.section	.AMDGPU.csdata,"",@progbits
; Kernel info:
; codeLenInByte = 1644
; TotalNumSgprs: 28
; NumVgprs: 28
; ScratchSize: 0
; MemoryBound: 0
; FloatMode: 240
; IeeeMode: 1
; LDSByteSize: 0 bytes/workgroup (compile time only)
; SGPRBlocks: 3
; VGPRBlocks: 6
; NumSGPRsForWavesPerEU: 28
; NumVGPRsForWavesPerEU: 28
; Occupancy: 9
; WaveLimiterHint : 0
; COMPUTE_PGM_RSRC2:SCRATCH_EN: 0
; COMPUTE_PGM_RSRC2:USER_SGPR: 6
; COMPUTE_PGM_RSRC2:TRAP_HANDLER: 0
; COMPUTE_PGM_RSRC2:TGID_X_EN: 1
; COMPUTE_PGM_RSRC2:TGID_Y_EN: 1
; COMPUTE_PGM_RSRC2:TGID_Z_EN: 0
; COMPUTE_PGM_RSRC2:TIDIG_COMP_CNT: 0
	.section	.text._ZN9rocsparseL30gtsv_nopivot_pcr_stage1_kernelILj256EfEEviiiiPKT0_S3_S3_S3_PS1_S4_S4_S4_,"axG",@progbits,_ZN9rocsparseL30gtsv_nopivot_pcr_stage1_kernelILj256EfEEviiiiPKT0_S3_S3_S3_PS1_S4_S4_S4_,comdat
	.globl	_ZN9rocsparseL30gtsv_nopivot_pcr_stage1_kernelILj256EfEEviiiiPKT0_S3_S3_S3_PS1_S4_S4_S4_ ; -- Begin function _ZN9rocsparseL30gtsv_nopivot_pcr_stage1_kernelILj256EfEEviiiiPKT0_S3_S3_S3_PS1_S4_S4_S4_
	.p2align	8
	.type	_ZN9rocsparseL30gtsv_nopivot_pcr_stage1_kernelILj256EfEEviiiiPKT0_S3_S3_S3_PS1_S4_S4_S4_,@function
_ZN9rocsparseL30gtsv_nopivot_pcr_stage1_kernelILj256EfEEviiiiPKT0_S3_S3_S3_PS1_S4_S4_S4_: ; @_ZN9rocsparseL30gtsv_nopivot_pcr_stage1_kernelILj256EfEEviiiiPKT0_S3_S3_S3_PS1_S4_S4_S4_
; %bb.0:
	s_load_dwordx4 s[8:11], s[4:5], 0x0
	v_lshl_or_b32 v4, s6, 8, v0
	s_waitcnt lgkmcnt(0)
	v_cmp_gt_i32_e32 vcc, s9, v4
	s_and_saveexec_b64 s[0:1], vcc
	s_cbranch_execz .LBB23_4
; %bb.1:
	s_load_dwordx4 s[0:3], s[4:5], 0x10
	s_load_dwordx2 s[6:7], s[4:5], 0x20
	v_subrev_u32_e32 v0, s8, v4
	v_ashrrev_i32_e32 v5, 31, v4
	v_max_i32_e32 v2, 0, v0
	v_lshlrev_b64 v[0:1], 2, v[4:5]
	s_waitcnt lgkmcnt(0)
	v_mov_b32_e32 v3, s1
	v_add_co_u32_e32 v5, vcc, s0, v0
	v_addc_co_u32_e32 v6, vcc, v3, v1, vcc
	v_mov_b32_e32 v3, 0
	v_lshlrev_b64 v[2:3], 2, v[2:3]
	global_load_dword v16, v[5:6], off
	v_mov_b32_e32 v6, s3
	v_add_co_u32_e32 v5, vcc, s2, v2
	v_addc_co_u32_e32 v6, vcc, v6, v3, vcc
	global_load_dword v17, v[5:6], off
	v_add_u32_e32 v4, s8, v4
	s_add_i32 s8, s9, -1
	v_mov_b32_e32 v6, s7
	v_add_co_u32_e32 v5, vcc, s6, v0
	v_min_i32_e32 v4, s8, v4
	v_addc_co_u32_e32 v6, vcc, v6, v1, vcc
	global_load_dword v18, v[5:6], off
	v_ashrrev_i32_e32 v5, 31, v4
	v_lshlrev_b64 v[4:5], 2, v[4:5]
	v_mov_b32_e32 v7, s3
	v_add_co_u32_e32 v6, vcc, s2, v4
	v_addc_co_u32_e32 v7, vcc, v7, v5, vcc
	global_load_dword v19, v[6:7], off
	v_mov_b32_e32 v7, s1
	v_add_co_u32_e32 v6, vcc, s0, v2
	v_addc_co_u32_e32 v7, vcc, v7, v3, vcc
	v_mov_b32_e32 v9, s7
	v_add_co_u32_e32 v8, vcc, s6, v4
	v_addc_co_u32_e32 v9, vcc, v9, v5, vcc
	;; [unrolled: 3-line block ×5, first 2 shown]
	global_load_dword v20, v[10:11], off
	global_load_dword v21, v[12:13], off
	;; [unrolled: 1-line block ×4, first 2 shown]
                                        ; kill: killed $vgpr6 killed $vgpr7
                                        ; kill: killed $vgpr12 killed $vgpr13
                                        ; kill: killed $vgpr10 killed $vgpr11
                                        ; kill: killed $vgpr14 killed $vgpr15
	s_nop 0
	global_load_dword v14, v[8:9], off
	s_load_dwordx4 s[12:15], s[4:5], 0x30
	s_cmp_lt_i32 s10, 1
	s_waitcnt vmcnt(7)
	v_div_scale_f32 v6, s[0:1], v17, v17, v16
	v_div_scale_f32 v7, vcc, v16, v17, v16
	v_rcp_f32_e32 v8, v6
	v_fma_f32 v9, -v6, v8, 1.0
	v_fmac_f32_e32 v8, v9, v8
	v_mul_f32_e32 v9, v7, v8
	v_fma_f32 v10, -v6, v9, v7
	v_fmac_f32_e32 v9, v10, v8
	s_waitcnt vmcnt(5)
	v_div_scale_f32 v10, s[0:1], v19, v19, v18
	v_fma_f32 v6, -v6, v9, v7
	v_div_scale_f32 v7, s[0:1], v18, v19, v18
	v_div_fmas_f32 v8, v6, v8, v9
	s_mov_b64 vcc, s[0:1]
	s_load_dwordx2 s[0:1], s[4:5], 0x40
	s_waitcnt lgkmcnt(0)
	v_mov_b32_e32 v13, s1
	v_rcp_f32_e32 v6, v10
	v_fma_f32 v9, -v10, v6, 1.0
	v_fmac_f32_e32 v6, v9, v6
	v_mul_f32_e32 v9, v7, v6
	v_fma_f32 v11, -v10, v9, v7
	v_fmac_f32_e32 v9, v11, v6
	v_fma_f32 v7, -v10, v9, v7
	v_div_fmas_f32 v9, v7, v6, v9
	v_mov_b32_e32 v7, s15
	v_add_co_u32_e32 v6, vcc, s14, v0
	v_addc_co_u32_e32 v7, vcc, v7, v1, vcc
	v_mov_b32_e32 v11, s13
	v_div_fixup_f32 v8, v8, v17, v16
	v_add_co_u32_e32 v10, vcc, s12, v0
	v_addc_co_u32_e32 v11, vcc, v11, v1, vcc
	s_waitcnt vmcnt(3)
	v_fma_f32 v15, -v8, v21, v20
	v_add_co_u32_e32 v12, vcc, s0, v0
	s_waitcnt vmcnt(2)
	v_mul_f32_e64 v16, v8, -v22
	v_div_fixup_f32 v9, v9, v19, v18
	s_waitcnt vmcnt(1)
	v_fma_f32 v15, -v9, v23, v15
	v_addc_co_u32_e32 v13, vcc, v13, v1, vcc
	global_store_dword v[10:11], v16, off
	s_waitcnt vmcnt(1)
	v_mul_f32_e64 v10, v9, -v14
	global_store_dword v[6:7], v15, off
	global_store_dword v[12:13], v10, off
	s_cbranch_scc1 .LBB23_4
; %bb.2:
	s_load_dwordx2 s[0:1], s[4:5], 0x48
	s_load_dwordx2 s[6:7], s[4:5], 0x28
	s_waitcnt lgkmcnt(0)
	v_mov_b32_e32 v7, s1
	v_add_co_u32_e32 v6, vcc, s0, v0
	s_ashr_i32 s1, s9, 31
	s_mov_b32 s0, s9
	s_lshl_b64 s[4:5], s[0:1], 2
	s_ashr_i32 s1, s11, 31
	s_mov_b32 s0, s11
	v_addc_co_u32_e32 v7, vcc, v7, v1, vcc
	s_lshl_b64 s[8:9], s[0:1], 2
.LBB23_3:                               ; =>This Inner Loop Header: Depth=1
	v_mov_b32_e32 v13, s7
	v_add_co_u32_e32 v10, vcc, s6, v2
	v_add_co_u32_e64 v12, s[0:1], s6, v0
	v_add_co_u32_e64 v14, s[2:3], s6, v4
	v_addc_co_u32_e32 v11, vcc, v13, v3, vcc
	v_addc_co_u32_e64 v15, s[2:3], v13, v5, s[2:3]
	v_addc_co_u32_e64 v13, vcc, v13, v1, s[0:1]
	global_load_dword v16, v[10:11], off
	global_load_dword v17, v[12:13], off
	;; [unrolled: 1-line block ×3, first 2 shown]
	s_add_i32 s10, s10, -1
	s_add_u32 s6, s6, s8
	v_mov_b32_e32 v10, s5
	s_addc_u32 s7, s7, s9
	s_cmp_lg_u32 s10, 0
	s_waitcnt vmcnt(1)
	v_fma_f32 v11, -v8, v16, v17
	s_waitcnt vmcnt(0)
	v_fma_f32 v11, -v9, v18, v11
	global_store_dword v[6:7], v11, off
	v_add_co_u32_e32 v6, vcc, s4, v6
	v_addc_co_u32_e32 v7, vcc, v7, v10, vcc
	s_cbranch_scc1 .LBB23_3
.LBB23_4:
	s_endpgm
	.section	.rodata,"a",@progbits
	.p2align	6, 0x0
	.amdhsa_kernel _ZN9rocsparseL30gtsv_nopivot_pcr_stage1_kernelILj256EfEEviiiiPKT0_S3_S3_S3_PS1_S4_S4_S4_
		.amdhsa_group_segment_fixed_size 0
		.amdhsa_private_segment_fixed_size 0
		.amdhsa_kernarg_size 80
		.amdhsa_user_sgpr_count 6
		.amdhsa_user_sgpr_private_segment_buffer 1
		.amdhsa_user_sgpr_dispatch_ptr 0
		.amdhsa_user_sgpr_queue_ptr 0
		.amdhsa_user_sgpr_kernarg_segment_ptr 1
		.amdhsa_user_sgpr_dispatch_id 0
		.amdhsa_user_sgpr_flat_scratch_init 0
		.amdhsa_user_sgpr_private_segment_size 0
		.amdhsa_uses_dynamic_stack 0
		.amdhsa_system_sgpr_private_segment_wavefront_offset 0
		.amdhsa_system_sgpr_workgroup_id_x 1
		.amdhsa_system_sgpr_workgroup_id_y 0
		.amdhsa_system_sgpr_workgroup_id_z 0
		.amdhsa_system_sgpr_workgroup_info 0
		.amdhsa_system_vgpr_workitem_id 0
		.amdhsa_next_free_vgpr 24
		.amdhsa_next_free_sgpr 16
		.amdhsa_reserve_vcc 1
		.amdhsa_reserve_flat_scratch 0
		.amdhsa_float_round_mode_32 0
		.amdhsa_float_round_mode_16_64 0
		.amdhsa_float_denorm_mode_32 3
		.amdhsa_float_denorm_mode_16_64 3
		.amdhsa_dx10_clamp 1
		.amdhsa_ieee_mode 1
		.amdhsa_fp16_overflow 0
		.amdhsa_exception_fp_ieee_invalid_op 0
		.amdhsa_exception_fp_denorm_src 0
		.amdhsa_exception_fp_ieee_div_zero 0
		.amdhsa_exception_fp_ieee_overflow 0
		.amdhsa_exception_fp_ieee_underflow 0
		.amdhsa_exception_fp_ieee_inexact 0
		.amdhsa_exception_int_div_zero 0
	.end_amdhsa_kernel
	.section	.text._ZN9rocsparseL30gtsv_nopivot_pcr_stage1_kernelILj256EfEEviiiiPKT0_S3_S3_S3_PS1_S4_S4_S4_,"axG",@progbits,_ZN9rocsparseL30gtsv_nopivot_pcr_stage1_kernelILj256EfEEviiiiPKT0_S3_S3_S3_PS1_S4_S4_S4_,comdat
.Lfunc_end23:
	.size	_ZN9rocsparseL30gtsv_nopivot_pcr_stage1_kernelILj256EfEEviiiiPKT0_S3_S3_S3_PS1_S4_S4_S4_, .Lfunc_end23-_ZN9rocsparseL30gtsv_nopivot_pcr_stage1_kernelILj256EfEEviiiiPKT0_S3_S3_S3_PS1_S4_S4_S4_
                                        ; -- End function
	.set _ZN9rocsparseL30gtsv_nopivot_pcr_stage1_kernelILj256EfEEviiiiPKT0_S3_S3_S3_PS1_S4_S4_S4_.num_vgpr, 24
	.set _ZN9rocsparseL30gtsv_nopivot_pcr_stage1_kernelILj256EfEEviiiiPKT0_S3_S3_S3_PS1_S4_S4_S4_.num_agpr, 0
	.set _ZN9rocsparseL30gtsv_nopivot_pcr_stage1_kernelILj256EfEEviiiiPKT0_S3_S3_S3_PS1_S4_S4_S4_.numbered_sgpr, 16
	.set _ZN9rocsparseL30gtsv_nopivot_pcr_stage1_kernelILj256EfEEviiiiPKT0_S3_S3_S3_PS1_S4_S4_S4_.num_named_barrier, 0
	.set _ZN9rocsparseL30gtsv_nopivot_pcr_stage1_kernelILj256EfEEviiiiPKT0_S3_S3_S3_PS1_S4_S4_S4_.private_seg_size, 0
	.set _ZN9rocsparseL30gtsv_nopivot_pcr_stage1_kernelILj256EfEEviiiiPKT0_S3_S3_S3_PS1_S4_S4_S4_.uses_vcc, 1
	.set _ZN9rocsparseL30gtsv_nopivot_pcr_stage1_kernelILj256EfEEviiiiPKT0_S3_S3_S3_PS1_S4_S4_S4_.uses_flat_scratch, 0
	.set _ZN9rocsparseL30gtsv_nopivot_pcr_stage1_kernelILj256EfEEviiiiPKT0_S3_S3_S3_PS1_S4_S4_S4_.has_dyn_sized_stack, 0
	.set _ZN9rocsparseL30gtsv_nopivot_pcr_stage1_kernelILj256EfEEviiiiPKT0_S3_S3_S3_PS1_S4_S4_S4_.has_recursion, 0
	.set _ZN9rocsparseL30gtsv_nopivot_pcr_stage1_kernelILj256EfEEviiiiPKT0_S3_S3_S3_PS1_S4_S4_S4_.has_indirect_call, 0
	.section	.AMDGPU.csdata,"",@progbits
; Kernel info:
; codeLenInByte = 776
; TotalNumSgprs: 20
; NumVgprs: 24
; ScratchSize: 0
; MemoryBound: 0
; FloatMode: 240
; IeeeMode: 1
; LDSByteSize: 0 bytes/workgroup (compile time only)
; SGPRBlocks: 2
; VGPRBlocks: 5
; NumSGPRsForWavesPerEU: 20
; NumVGPRsForWavesPerEU: 24
; Occupancy: 10
; WaveLimiterHint : 0
; COMPUTE_PGM_RSRC2:SCRATCH_EN: 0
; COMPUTE_PGM_RSRC2:USER_SGPR: 6
; COMPUTE_PGM_RSRC2:TRAP_HANDLER: 0
; COMPUTE_PGM_RSRC2:TGID_X_EN: 1
; COMPUTE_PGM_RSRC2:TGID_Y_EN: 0
; COMPUTE_PGM_RSRC2:TGID_Z_EN: 0
; COMPUTE_PGM_RSRC2:TIDIG_COMP_CNT: 0
	.section	.text._ZN9rocsparseL33gtsv_nopivot_thomas_stage2_kernelILj256EfEEviiiiPKT0_S3_S3_S3_PS1_S4_S4_S4_S4_,"axG",@progbits,_ZN9rocsparseL33gtsv_nopivot_thomas_stage2_kernelILj256EfEEviiiiPKT0_S3_S3_S3_PS1_S4_S4_S4_S4_,comdat
	.globl	_ZN9rocsparseL33gtsv_nopivot_thomas_stage2_kernelILj256EfEEviiiiPKT0_S3_S3_S3_PS1_S4_S4_S4_S4_ ; -- Begin function _ZN9rocsparseL33gtsv_nopivot_thomas_stage2_kernelILj256EfEEviiiiPKT0_S3_S3_S3_PS1_S4_S4_S4_S4_
	.p2align	8
	.type	_ZN9rocsparseL33gtsv_nopivot_thomas_stage2_kernelILj256EfEEviiiiPKT0_S3_S3_S3_PS1_S4_S4_S4_S4_,@function
_ZN9rocsparseL33gtsv_nopivot_thomas_stage2_kernelILj256EfEEviiiiPKT0_S3_S3_S3_PS1_S4_S4_S4_S4_: ; @_ZN9rocsparseL33gtsv_nopivot_thomas_stage2_kernelILj256EfEEviiiiPKT0_S3_S3_S3_PS1_S4_S4_S4_S4_
; %bb.0:
	s_load_dwordx2 s[8:9], s[4:5], 0x0
	s_lshl_b32 s6, s6, 8
	v_or_b32_e32 v1, s6, v0
	s_waitcnt lgkmcnt(0)
	v_cmp_gt_i32_e32 vcc, s8, v1
	s_and_saveexec_b64 s[0:1], vcc
	s_cbranch_execz .LBB24_7
; %bb.1:
	s_load_dwordx4 s[0:3], s[4:5], 0x18
	s_load_dwordx2 s[10:11], s[4:5], 0x28
	v_ashrrev_i32_e32 v2, 31, v1
	v_lshlrev_b64 v[2:3], 2, v[1:2]
	s_mul_i32 s20, s9, s7
	s_waitcnt lgkmcnt(0)
	v_mov_b32_e32 v5, s3
	v_add_co_u32_e32 v4, vcc, s2, v2
	v_addc_co_u32_e32 v5, vcc, v5, v3, vcc
	v_mov_b32_e32 v9, 0
	v_add_u32_e32 v8, s20, v1
	v_mov_b32_e32 v7, s1
	v_add_co_u32_e32 v6, vcc, s0, v2
	v_lshlrev_b64 v[11:12], 2, v[8:9]
	v_addc_co_u32_e32 v7, vcc, v7, v3, vcc
	v_mov_b32_e32 v8, s11
	v_add_co_u32_e32 v13, vcc, s10, v11
	global_load_dword v15, v[4:5], off
	global_load_dword v16, v[6:7], off
	v_addc_co_u32_e32 v14, vcc, v8, v12, vcc
	global_load_dword v8, v[13:14], off
	s_abs_i32 s14, s8
	v_cvt_f32_u32_e32 v10, s14
	s_sub_i32 s15, 0, s14
	v_rcp_iflag_f32_e32 v10, v10
	v_mul_f32_e32 v10, 0x4f7ffffe, v10
	v_cvt_u32_f32_e32 v10, v10
	v_mul_lo_u32 v17, s15, v10
	v_mul_hi_u32 v17, v10, v17
	v_add_u32_e32 v17, v10, v17
	s_waitcnt vmcnt(1)
	v_div_scale_f32 v13, s[0:1], v16, v16, v15
	v_div_scale_f32 v18, vcc, v15, v16, v15
	s_waitcnt vmcnt(0)
	v_div_scale_f32 v14, s[0:1], v16, v16, v8
	s_load_dwordx4 s[0:3], s[4:5], 0x40
	s_load_dwordx2 s[12:13], s[4:5], 0x50
	s_waitcnt lgkmcnt(0)
	v_mov_b32_e32 v19, s1
	v_add_co_u32_e64 v2, s[0:1], s0, v2
	v_addc_co_u32_e64 v3, s[0:1], v19, v3, s[0:1]
	v_div_scale_f32 v21, s[0:1], v8, v16, v8
	v_rcp_f32_e32 v19, v13
	v_rcp_f32_e32 v20, v14
	v_fma_f32 v10, -v13, v19, 1.0
	v_fmac_f32_e32 v19, v10, v19
	v_fma_f32 v22, -v14, v20, 1.0
	v_fmac_f32_e32 v20, v22, v20
	v_mul_f32_e32 v22, v18, v19
	v_fma_f32 v10, -v13, v22, v18
	v_fmac_f32_e32 v22, v10, v19
	v_fma_f32 v13, -v13, v22, v18
	v_div_fmas_f32 v19, v13, v19, v22
	v_mul_f32_e32 v13, v21, v20
	v_xad_u32 v10, v1, -1, s9
	v_fma_f32 v22, -v14, v13, v21
	v_sub_u32_e32 v18, 0, v10
	v_fmac_f32_e32 v13, v22, v20
	v_max_i32_e32 v18, v10, v18
	v_fma_f32 v14, -v14, v13, v21
	s_mov_b64 vcc, s[0:1]
	v_mul_hi_u32 v17, v18, v17
	v_div_fmas_f32 v20, v14, v20, v13
	v_mov_b32_e32 v22, s3
	v_add_co_u32_e32 v13, vcc, s2, v11
	v_mul_lo_u32 v21, v17, s14
	v_addc_co_u32_e32 v14, vcc, v22, v12, vcc
	v_add_u32_e32 v11, 1, v17
	v_sub_u32_e32 v12, v18, v21
	v_cmp_le_u32_e32 vcc, s14, v12
	v_cndmask_b32_e32 v11, v17, v11, vcc
	v_subrev_u32_e32 v17, s14, v12
	v_cndmask_b32_e32 v12, v12, v17, vcc
	v_xor_b32_e32 v10, s8, v10
	v_add_u32_e32 v17, 1, v11
	v_cmp_le_u32_e32 vcc, s14, v12
	v_ashrrev_i32_e32 v10, 31, v10
	v_cndmask_b32_e32 v11, v11, v17, vcc
	v_xor_b32_e32 v11, v11, v10
	v_sub_u32_e32 v12, v11, v10
	s_mov_b32 s9, 0
	v_div_fixup_f32 v17, v19, v16, v15
	v_div_fixup_f32 v8, v20, v16, v8
	v_cmp_lt_i32_e32 vcc, 0, v12
	global_store_dword v[2:3], v17, off
	global_store_dword v[13:14], v8, off
	s_and_saveexec_b64 s[0:1], vcc
	s_cbranch_execz .LBB24_4
; %bb.2:
	s_load_dwordx2 s[14:15], s[4:5], 0x10
	s_add_i32 s16, s6, s20
	v_add_u32_e32 v13, s16, v0
	v_add_u32_e32 v14, s8, v1
	v_add_u32_e32 v15, s8, v13
	s_mov_b64 s[16:17], 0
	v_mov_b32_e32 v16, v12
.LBB24_3:                               ; =>This Inner Loop Header: Depth=1
	v_add_u32_e32 v18, s9, v14
	v_ashrrev_i32_e32 v19, 31, v18
	v_lshlrev_b64 v[18:19], 2, v[18:19]
	s_waitcnt lgkmcnt(0)
	v_mov_b32_e32 v8, s15
	v_add_co_u32_e32 v18, vcc, s14, v18
	v_addc_co_u32_e32 v19, vcc, v8, v19, vcc
	v_add_u32_e32 v8, s9, v15
	v_lshlrev_b64 v[20:21], 2, v[8:9]
	v_mov_b32_e32 v23, s11
	v_add_co_u32_e32 v22, vcc, s10, v20
	v_addc_co_u32_e32 v23, vcc, v23, v21, vcc
	v_add_u32_e32 v8, s9, v13
	v_mov_b32_e32 v26, s3
	v_add_co_u32_e32 v20, vcc, s2, v20
	v_lshlrev_b64 v[24:25], 2, v[8:9]
	v_addc_co_u32_e32 v21, vcc, v26, v21, vcc
	s_add_i32 s18, s8, s9
	v_add_co_u32_e32 v24, vcc, s2, v24
	s_ashr_i32 s19, s18, 31
	v_addc_co_u32_e32 v25, vcc, v26, v25, vcc
	s_lshl_b64 s[22:23], s[18:19], 2
	global_load_dword v8, v[22:23], off
	v_mov_b32_e32 v26, s23
	v_add_co_u32_e32 v22, vcc, s22, v6
	v_addc_co_u32_e32 v23, vcc, v7, v26, vcc
	global_load_dword v22, v[22:23], off
	s_nop 0
	global_load_dword v23, v[18:19], off
	global_load_dword v27, v[24:25], off
	v_add_u32_e32 v16, -1, v16
	s_mov_b32 s9, s18
	s_waitcnt vmcnt(1)
	v_fma_f32 v17, -v17, v23, v22
	v_div_scale_f32 v18, s[24:25], v17, v17, 1.0
	s_waitcnt vmcnt(0)
	v_fma_f32 v8, -v23, v27, v8
	v_rcp_f32_e32 v19, v18
	v_fma_f32 v22, -v18, v19, 1.0
	v_fmac_f32_e32 v19, v22, v19
	v_div_scale_f32 v22, vcc, 1.0, v17, 1.0
	v_mul_f32_e32 v23, v22, v19
	v_fma_f32 v24, -v18, v23, v22
	v_fmac_f32_e32 v23, v24, v19
	v_fma_f32 v18, -v18, v23, v22
	v_div_fmas_f32 v18, v18, v19, v23
	v_div_fixup_f32 v22, v18, v17, 1.0
	v_add_co_u32_e32 v17, vcc, s22, v4
	v_mul_f32_e32 v8, v22, v8
	v_addc_co_u32_e32 v18, vcc, v5, v26, vcc
	global_store_dword v[20:21], v8, off
	global_load_dword v8, v[17:18], off
	v_add_co_u32_e32 v18, vcc, s22, v2
	v_addc_co_u32_e32 v19, vcc, v3, v26, vcc
	v_cmp_eq_u32_e32 vcc, 0, v16
	s_or_b64 s[16:17], vcc, s[16:17]
	s_waitcnt vmcnt(0)
	v_mul_f32_e32 v17, v8, v22
	global_store_dword v[18:19], v17, off
	s_andn2_b64 exec, exec, s[16:17]
	s_cbranch_execnz .LBB24_3
.LBB24_4:
	s_or_b64 exec, exec, s[0:1]
	v_mul_lo_u32 v8, v12, s8
	v_mov_b32_e32 v5, 0
	v_mov_b32_e32 v9, s3
	s_load_dword s0, s[4:5], 0xc
	v_add_u32_e32 v1, v8, v1
	v_add_u32_e32 v4, s20, v1
	v_lshlrev_b64 v[6:7], 2, v[4:5]
	v_mov_b32_e32 v13, s13
	v_add_co_u32_e32 v6, vcc, s2, v6
	v_addc_co_u32_e32 v7, vcc, v9, v7, vcc
	global_load_dword v9, v[6:7], off
	s_waitcnt lgkmcnt(0)
	s_mul_i32 s0, s0, s7
	v_add_u32_e32 v4, s0, v1
	v_lshlrev_b64 v[6:7], 2, v[4:5]
	v_add_co_u32_e32 v6, vcc, s12, v6
	v_addc_co_u32_e32 v7, vcc, v13, v7, vcc
	v_cmp_lt_i32_e32 vcc, 0, v12
	s_waitcnt vmcnt(0)
	global_store_dword v[6:7], v9, off
	s_and_b64 exec, exec, vcc
	s_cbranch_execz .LBB24_7
; %bb.5:
	v_xad_u32 v4, v10, -1, v11
	v_mul_lo_u32 v6, s8, v4
	v_sub_u32_e32 v1, v11, v10
	s_add_i32 s1, s6, s20
	s_add_i32 s6, s6, s0
	v_add_u32_e32 v1, 1, v1
	v_add_u32_e32 v9, s1, v0
	;; [unrolled: 1-line block ×3, first 2 shown]
	s_mov_b64 s[0:1], 0
	v_mov_b32_e32 v10, s3
	v_mov_b32_e32 v11, s13
.LBB24_6:                               ; =>This Inner Loop Header: Depth=1
	v_add_u32_e32 v4, v9, v6
	v_lshlrev_b64 v[12:13], 2, v[4:5]
	v_ashrrev_i32_e32 v7, 31, v6
	v_lshlrev_b64 v[14:15], 2, v[6:7]
	v_add_co_u32_e32 v12, vcc, s2, v12
	v_add_u32_e32 v4, v0, v8
	v_addc_co_u32_e32 v13, vcc, v10, v13, vcc
	v_lshlrev_b64 v[16:17], 2, v[4:5]
	v_add_co_u32_e32 v14, vcc, v2, v14
	v_addc_co_u32_e32 v15, vcc, v3, v15, vcc
	global_load_dword v7, v[12:13], off
	global_load_dword v18, v[14:15], off
	v_add_co_u32_e32 v12, vcc, s12, v16
	v_addc_co_u32_e32 v13, vcc, v11, v17, vcc
	global_load_dword v14, v[12:13], off
	v_add_u32_e32 v4, v0, v6
	v_add_u32_e32 v1, -1, v1
	v_lshlrev_b64 v[12:13], 2, v[4:5]
	v_cmp_gt_u32_e32 vcc, 2, v1
	s_or_b64 s[0:1], vcc, s[0:1]
	v_add_co_u32_e32 v12, vcc, s12, v12
	v_subrev_u32_e32 v8, s8, v8
	v_subrev_u32_e32 v6, s8, v6
	v_addc_co_u32_e32 v13, vcc, v11, v13, vcc
	s_waitcnt vmcnt(0)
	v_fma_f32 v4, -v18, v14, v7
	global_store_dword v[12:13], v4, off
	s_andn2_b64 exec, exec, s[0:1]
	s_cbranch_execnz .LBB24_6
.LBB24_7:
	s_endpgm
	.section	.rodata,"a",@progbits
	.p2align	6, 0x0
	.amdhsa_kernel _ZN9rocsparseL33gtsv_nopivot_thomas_stage2_kernelILj256EfEEviiiiPKT0_S3_S3_S3_PS1_S4_S4_S4_S4_
		.amdhsa_group_segment_fixed_size 0
		.amdhsa_private_segment_fixed_size 0
		.amdhsa_kernarg_size 88
		.amdhsa_user_sgpr_count 6
		.amdhsa_user_sgpr_private_segment_buffer 1
		.amdhsa_user_sgpr_dispatch_ptr 0
		.amdhsa_user_sgpr_queue_ptr 0
		.amdhsa_user_sgpr_kernarg_segment_ptr 1
		.amdhsa_user_sgpr_dispatch_id 0
		.amdhsa_user_sgpr_flat_scratch_init 0
		.amdhsa_user_sgpr_private_segment_size 0
		.amdhsa_uses_dynamic_stack 0
		.amdhsa_system_sgpr_private_segment_wavefront_offset 0
		.amdhsa_system_sgpr_workgroup_id_x 1
		.amdhsa_system_sgpr_workgroup_id_y 1
		.amdhsa_system_sgpr_workgroup_id_z 0
		.amdhsa_system_sgpr_workgroup_info 0
		.amdhsa_system_vgpr_workitem_id 0
		.amdhsa_next_free_vgpr 28
		.amdhsa_next_free_sgpr 26
		.amdhsa_reserve_vcc 1
		.amdhsa_reserve_flat_scratch 0
		.amdhsa_float_round_mode_32 0
		.amdhsa_float_round_mode_16_64 0
		.amdhsa_float_denorm_mode_32 3
		.amdhsa_float_denorm_mode_16_64 3
		.amdhsa_dx10_clamp 1
		.amdhsa_ieee_mode 1
		.amdhsa_fp16_overflow 0
		.amdhsa_exception_fp_ieee_invalid_op 0
		.amdhsa_exception_fp_denorm_src 0
		.amdhsa_exception_fp_ieee_div_zero 0
		.amdhsa_exception_fp_ieee_overflow 0
		.amdhsa_exception_fp_ieee_underflow 0
		.amdhsa_exception_fp_ieee_inexact 0
		.amdhsa_exception_int_div_zero 0
	.end_amdhsa_kernel
	.section	.text._ZN9rocsparseL33gtsv_nopivot_thomas_stage2_kernelILj256EfEEviiiiPKT0_S3_S3_S3_PS1_S4_S4_S4_S4_,"axG",@progbits,_ZN9rocsparseL33gtsv_nopivot_thomas_stage2_kernelILj256EfEEviiiiPKT0_S3_S3_S3_PS1_S4_S4_S4_S4_,comdat
.Lfunc_end24:
	.size	_ZN9rocsparseL33gtsv_nopivot_thomas_stage2_kernelILj256EfEEviiiiPKT0_S3_S3_S3_PS1_S4_S4_S4_S4_, .Lfunc_end24-_ZN9rocsparseL33gtsv_nopivot_thomas_stage2_kernelILj256EfEEviiiiPKT0_S3_S3_S3_PS1_S4_S4_S4_S4_
                                        ; -- End function
	.set _ZN9rocsparseL33gtsv_nopivot_thomas_stage2_kernelILj256EfEEviiiiPKT0_S3_S3_S3_PS1_S4_S4_S4_S4_.num_vgpr, 28
	.set _ZN9rocsparseL33gtsv_nopivot_thomas_stage2_kernelILj256EfEEviiiiPKT0_S3_S3_S3_PS1_S4_S4_S4_S4_.num_agpr, 0
	.set _ZN9rocsparseL33gtsv_nopivot_thomas_stage2_kernelILj256EfEEviiiiPKT0_S3_S3_S3_PS1_S4_S4_S4_S4_.numbered_sgpr, 26
	.set _ZN9rocsparseL33gtsv_nopivot_thomas_stage2_kernelILj256EfEEviiiiPKT0_S3_S3_S3_PS1_S4_S4_S4_S4_.num_named_barrier, 0
	.set _ZN9rocsparseL33gtsv_nopivot_thomas_stage2_kernelILj256EfEEviiiiPKT0_S3_S3_S3_PS1_S4_S4_S4_S4_.private_seg_size, 0
	.set _ZN9rocsparseL33gtsv_nopivot_thomas_stage2_kernelILj256EfEEviiiiPKT0_S3_S3_S3_PS1_S4_S4_S4_S4_.uses_vcc, 1
	.set _ZN9rocsparseL33gtsv_nopivot_thomas_stage2_kernelILj256EfEEviiiiPKT0_S3_S3_S3_PS1_S4_S4_S4_S4_.uses_flat_scratch, 0
	.set _ZN9rocsparseL33gtsv_nopivot_thomas_stage2_kernelILj256EfEEviiiiPKT0_S3_S3_S3_PS1_S4_S4_S4_S4_.has_dyn_sized_stack, 0
	.set _ZN9rocsparseL33gtsv_nopivot_thomas_stage2_kernelILj256EfEEviiiiPKT0_S3_S3_S3_PS1_S4_S4_S4_S4_.has_recursion, 0
	.set _ZN9rocsparseL33gtsv_nopivot_thomas_stage2_kernelILj256EfEEviiiiPKT0_S3_S3_S3_PS1_S4_S4_S4_S4_.has_indirect_call, 0
	.section	.AMDGPU.csdata,"",@progbits
; Kernel info:
; codeLenInByte = 1192
; TotalNumSgprs: 30
; NumVgprs: 28
; ScratchSize: 0
; MemoryBound: 0
; FloatMode: 240
; IeeeMode: 1
; LDSByteSize: 0 bytes/workgroup (compile time only)
; SGPRBlocks: 3
; VGPRBlocks: 6
; NumSGPRsForWavesPerEU: 30
; NumVGPRsForWavesPerEU: 28
; Occupancy: 9
; WaveLimiterHint : 0
; COMPUTE_PGM_RSRC2:SCRATCH_EN: 0
; COMPUTE_PGM_RSRC2:USER_SGPR: 6
; COMPUTE_PGM_RSRC2:TRAP_HANDLER: 0
; COMPUTE_PGM_RSRC2:TGID_X_EN: 1
; COMPUTE_PGM_RSRC2:TGID_Y_EN: 1
; COMPUTE_PGM_RSRC2:TGID_Z_EN: 0
; COMPUTE_PGM_RSRC2:TIDIG_COMP_CNT: 0
	.section	.text._ZN9rocsparseL35gtsv_nopivot_pcr_pow2_shared_kernelILj2EdEEviiiPKT0_S3_S3_PS1_,"axG",@progbits,_ZN9rocsparseL35gtsv_nopivot_pcr_pow2_shared_kernelILj2EdEEviiiPKT0_S3_S3_PS1_,comdat
	.globl	_ZN9rocsparseL35gtsv_nopivot_pcr_pow2_shared_kernelILj2EdEEviiiPKT0_S3_S3_PS1_ ; -- Begin function _ZN9rocsparseL35gtsv_nopivot_pcr_pow2_shared_kernelILj2EdEEviiiPKT0_S3_S3_PS1_
	.p2align	8
	.type	_ZN9rocsparseL35gtsv_nopivot_pcr_pow2_shared_kernelILj2EdEEviiiPKT0_S3_S3_PS1_,@function
_ZN9rocsparseL35gtsv_nopivot_pcr_pow2_shared_kernelILj2EdEEviiiPKT0_S3_S3_PS1_: ; @_ZN9rocsparseL35gtsv_nopivot_pcr_pow2_shared_kernelILj2EdEEviiiPKT0_S3_S3_PS1_
; %bb.0:
	s_load_dwordx8 s[8:15], s[4:5], 0x10
	s_load_dword s0, s[4:5], 0x8
	v_mov_b32_e32 v3, 0
	v_lshlrev_b32_e32 v4, 3, v0
	s_waitcnt lgkmcnt(0)
	global_load_dwordx2 v[5:6], v4, s[8:9]
	global_load_dwordx2 v[7:8], v4, s[10:11]
	;; [unrolled: 1-line block ×3, first 2 shown]
	s_mul_i32 s0, s0, s6
	v_add_u32_e32 v2, s0, v0
	v_lshlrev_b64 v[1:2], 3, v[2:3]
	v_mov_b32_e32 v11, s15
	v_add_co_u32_e32 v1, vcc, s14, v1
	v_addc_co_u32_e32 v2, vcc, v11, v2, vcc
	global_load_dwordx2 v[11:12], v[1:2], off
	v_cmp_eq_u32_e32 vcc, 0, v0
	s_waitcnt vmcnt(2)
	ds_write2_b64 v4, v[5:6], v[7:8] offset1:4
	s_waitcnt vmcnt(0)
	ds_write2_b64 v4, v[9:10], v[11:12] offset0:8 offset1:16
	s_waitcnt lgkmcnt(0)
	; wave barrier
	s_and_saveexec_b64 s[0:1], vcc
	s_cbranch_execz .LBB25_2
; %bb.1:
	v_or_b32_e32 v0, 64, v4
	ds_read2_b64 v[5:8], v3 offset0:1 offset1:5
	ds_read_b64 v[9:10], v0
	v_or_b32_e32 v0, 32, v4
	ds_read_b64 v[13:14], v0
	v_or_b32_e32 v0, 0x80, v4
	s_waitcnt lgkmcnt(1)
	v_mul_f64 v[11:12], v[9:10], v[5:6]
	s_waitcnt lgkmcnt(0)
	v_fma_f64 v[11:12], v[7:8], v[13:14], -v[11:12]
	v_div_scale_f64 v[15:16], s[2:3], v[11:12], v[11:12], 1.0
	v_rcp_f64_e32 v[17:18], v[15:16]
	v_fma_f64 v[19:20], -v[15:16], v[17:18], 1.0
	v_fma_f64 v[17:18], v[17:18], v[19:20], v[17:18]
	v_fma_f64 v[19:20], -v[15:16], v[17:18], 1.0
	v_fma_f64 v[17:18], v[17:18], v[19:20], v[17:18]
	v_div_scale_f64 v[19:20], vcc, 1.0, v[11:12], 1.0
	v_mul_f64 v[21:22], v[19:20], v[17:18]
	v_fma_f64 v[15:16], -v[15:16], v[21:22], v[19:20]
	ds_read_b64 v[19:20], v0
	s_waitcnt lgkmcnt(0)
	v_mul_f64 v[5:6], v[5:6], v[19:20]
	v_div_fmas_f64 v[15:16], v[15:16], v[17:18], v[21:22]
	ds_read_b64 v[17:18], v3 offset:136
	s_waitcnt lgkmcnt(0)
	v_mul_f64 v[9:10], v[9:10], v[17:18]
	v_fma_f64 v[7:8], v[7:8], v[19:20], -v[9:10]
	v_div_fixup_f64 v[9:10], v[15:16], v[11:12], 1.0
	v_fma_f64 v[11:12], v[13:14], v[17:18], -v[5:6]
	v_mul_f64 v[5:6], v[9:10], v[7:8]
	v_mul_f64 v[7:8], v[9:10], v[11:12]
	ds_write_b128 v3, v[5:8] offset:96
.LBB25_2:
	s_or_b64 exec, exec, s[0:1]
	s_waitcnt lgkmcnt(0)
	; wave barrier
	ds_read_b64 v[3:4], v4 offset:96
	s_waitcnt lgkmcnt(0)
	global_store_dwordx2 v[1:2], v[3:4], off
	s_endpgm
	.section	.rodata,"a",@progbits
	.p2align	6, 0x0
	.amdhsa_kernel _ZN9rocsparseL35gtsv_nopivot_pcr_pow2_shared_kernelILj2EdEEviiiPKT0_S3_S3_PS1_
		.amdhsa_group_segment_fixed_size 152
		.amdhsa_private_segment_fixed_size 0
		.amdhsa_kernarg_size 48
		.amdhsa_user_sgpr_count 6
		.amdhsa_user_sgpr_private_segment_buffer 1
		.amdhsa_user_sgpr_dispatch_ptr 0
		.amdhsa_user_sgpr_queue_ptr 0
		.amdhsa_user_sgpr_kernarg_segment_ptr 1
		.amdhsa_user_sgpr_dispatch_id 0
		.amdhsa_user_sgpr_flat_scratch_init 0
		.amdhsa_user_sgpr_private_segment_size 0
		.amdhsa_uses_dynamic_stack 0
		.amdhsa_system_sgpr_private_segment_wavefront_offset 0
		.amdhsa_system_sgpr_workgroup_id_x 1
		.amdhsa_system_sgpr_workgroup_id_y 0
		.amdhsa_system_sgpr_workgroup_id_z 0
		.amdhsa_system_sgpr_workgroup_info 0
		.amdhsa_system_vgpr_workitem_id 0
		.amdhsa_next_free_vgpr 23
		.amdhsa_next_free_sgpr 16
		.amdhsa_reserve_vcc 1
		.amdhsa_reserve_flat_scratch 0
		.amdhsa_float_round_mode_32 0
		.amdhsa_float_round_mode_16_64 0
		.amdhsa_float_denorm_mode_32 3
		.amdhsa_float_denorm_mode_16_64 3
		.amdhsa_dx10_clamp 1
		.amdhsa_ieee_mode 1
		.amdhsa_fp16_overflow 0
		.amdhsa_exception_fp_ieee_invalid_op 0
		.amdhsa_exception_fp_denorm_src 0
		.amdhsa_exception_fp_ieee_div_zero 0
		.amdhsa_exception_fp_ieee_overflow 0
		.amdhsa_exception_fp_ieee_underflow 0
		.amdhsa_exception_fp_ieee_inexact 0
		.amdhsa_exception_int_div_zero 0
	.end_amdhsa_kernel
	.section	.text._ZN9rocsparseL35gtsv_nopivot_pcr_pow2_shared_kernelILj2EdEEviiiPKT0_S3_S3_PS1_,"axG",@progbits,_ZN9rocsparseL35gtsv_nopivot_pcr_pow2_shared_kernelILj2EdEEviiiPKT0_S3_S3_PS1_,comdat
.Lfunc_end25:
	.size	_ZN9rocsparseL35gtsv_nopivot_pcr_pow2_shared_kernelILj2EdEEviiiPKT0_S3_S3_PS1_, .Lfunc_end25-_ZN9rocsparseL35gtsv_nopivot_pcr_pow2_shared_kernelILj2EdEEviiiPKT0_S3_S3_PS1_
                                        ; -- End function
	.set _ZN9rocsparseL35gtsv_nopivot_pcr_pow2_shared_kernelILj2EdEEviiiPKT0_S3_S3_PS1_.num_vgpr, 23
	.set _ZN9rocsparseL35gtsv_nopivot_pcr_pow2_shared_kernelILj2EdEEviiiPKT0_S3_S3_PS1_.num_agpr, 0
	.set _ZN9rocsparseL35gtsv_nopivot_pcr_pow2_shared_kernelILj2EdEEviiiPKT0_S3_S3_PS1_.numbered_sgpr, 16
	.set _ZN9rocsparseL35gtsv_nopivot_pcr_pow2_shared_kernelILj2EdEEviiiPKT0_S3_S3_PS1_.num_named_barrier, 0
	.set _ZN9rocsparseL35gtsv_nopivot_pcr_pow2_shared_kernelILj2EdEEviiiPKT0_S3_S3_PS1_.private_seg_size, 0
	.set _ZN9rocsparseL35gtsv_nopivot_pcr_pow2_shared_kernelILj2EdEEviiiPKT0_S3_S3_PS1_.uses_vcc, 1
	.set _ZN9rocsparseL35gtsv_nopivot_pcr_pow2_shared_kernelILj2EdEEviiiPKT0_S3_S3_PS1_.uses_flat_scratch, 0
	.set _ZN9rocsparseL35gtsv_nopivot_pcr_pow2_shared_kernelILj2EdEEviiiPKT0_S3_S3_PS1_.has_dyn_sized_stack, 0
	.set _ZN9rocsparseL35gtsv_nopivot_pcr_pow2_shared_kernelILj2EdEEviiiPKT0_S3_S3_PS1_.has_recursion, 0
	.set _ZN9rocsparseL35gtsv_nopivot_pcr_pow2_shared_kernelILj2EdEEviiiPKT0_S3_S3_PS1_.has_indirect_call, 0
	.section	.AMDGPU.csdata,"",@progbits
; Kernel info:
; codeLenInByte = 388
; TotalNumSgprs: 20
; NumVgprs: 23
; ScratchSize: 0
; MemoryBound: 1
; FloatMode: 240
; IeeeMode: 1
; LDSByteSize: 152 bytes/workgroup (compile time only)
; SGPRBlocks: 2
; VGPRBlocks: 5
; NumSGPRsForWavesPerEU: 20
; NumVGPRsForWavesPerEU: 23
; Occupancy: 10
; WaveLimiterHint : 1
; COMPUTE_PGM_RSRC2:SCRATCH_EN: 0
; COMPUTE_PGM_RSRC2:USER_SGPR: 6
; COMPUTE_PGM_RSRC2:TRAP_HANDLER: 0
; COMPUTE_PGM_RSRC2:TGID_X_EN: 1
; COMPUTE_PGM_RSRC2:TGID_Y_EN: 0
; COMPUTE_PGM_RSRC2:TGID_Z_EN: 0
; COMPUTE_PGM_RSRC2:TIDIG_COMP_CNT: 0
	.section	.text._ZN9rocsparseL35gtsv_nopivot_pcr_pow2_shared_kernelILj4EdEEviiiPKT0_S3_S3_PS1_,"axG",@progbits,_ZN9rocsparseL35gtsv_nopivot_pcr_pow2_shared_kernelILj4EdEEviiiPKT0_S3_S3_PS1_,comdat
	.globl	_ZN9rocsparseL35gtsv_nopivot_pcr_pow2_shared_kernelILj4EdEEviiiPKT0_S3_S3_PS1_ ; -- Begin function _ZN9rocsparseL35gtsv_nopivot_pcr_pow2_shared_kernelILj4EdEEviiiPKT0_S3_S3_PS1_
	.p2align	8
	.type	_ZN9rocsparseL35gtsv_nopivot_pcr_pow2_shared_kernelILj4EdEEviiiPKT0_S3_S3_PS1_,@function
_ZN9rocsparseL35gtsv_nopivot_pcr_pow2_shared_kernelILj4EdEEviiiPKT0_S3_S3_PS1_: ; @_ZN9rocsparseL35gtsv_nopivot_pcr_pow2_shared_kernelILj4EdEEviiiPKT0_S3_S3_PS1_
; %bb.0:
	s_load_dwordx8 s[8:15], s[4:5], 0x10
	s_load_dword s0, s[4:5], 0x8
	v_mov_b32_e32 v2, 0
	v_lshlrev_b32_e32 v3, 3, v0
	v_sub_u32_e64 v12, v0, 1 clamp
	s_waitcnt lgkmcnt(0)
	v_mov_b32_e32 v10, s15
	s_mul_i32 s0, s0, s6
	v_add_u32_e32 v1, s0, v0
	v_lshlrev_b64 v[1:2], 3, v[1:2]
	global_load_dwordx2 v[4:5], v3, s[8:9]
	global_load_dwordx2 v[6:7], v3, s[10:11]
	;; [unrolled: 1-line block ×3, first 2 shown]
	v_add_co_u32_e32 v1, vcc, s14, v1
	v_addc_co_u32_e32 v2, vcc, v10, v2, vcc
	global_load_dwordx2 v[10:11], v[1:2], off
	v_lshlrev_b32_e32 v32, 3, v12
	s_waitcnt vmcnt(2)
	ds_write2_b64 v3, v[4:5], v[6:7] offset1:6
	s_waitcnt vmcnt(0)
	ds_write2_b64 v3, v[8:9], v[10:11] offset0:12 offset1:24
	s_waitcnt lgkmcnt(0)
	; wave barrier
	ds_read2_b64 v[4:7], v32 offset1:6
	ds_read2_b64 v[8:11], v3 offset1:6
	s_waitcnt lgkmcnt(0)
	v_div_scale_f64 v[20:21], s[0:1], v[6:7], v[6:7], v[8:9]
	v_div_scale_f64 v[26:27], vcc, v[8:9], v[6:7], v[8:9]
	v_rcp_f64_e32 v[12:13], v[20:21]
	v_fma_f64 v[14:15], -v[20:21], v[12:13], 1.0
	v_fma_f64 v[22:23], v[12:13], v[14:15], v[12:13]
	v_min_u32_e32 v12, 2, v0
	v_lshlrev_b32_e32 v33, 3, v12
	ds_read2_b64 v[12:15], v3 offset0:12 offset1:24
	ds_read2_b64 v[16:19], v33 offset0:1 offset1:7
	v_fma_f64 v[24:25], -v[20:21], v[22:23], 1.0
	v_fma_f64 v[22:23], v[22:23], v[24:25], v[22:23]
	s_waitcnt lgkmcnt(0)
	v_div_scale_f64 v[24:25], s[0:1], v[18:19], v[18:19], v[12:13]
	v_mul_f64 v[28:29], v[26:27], v[22:23]
	v_fma_f64 v[20:21], -v[20:21], v[28:29], v[26:27]
	v_rcp_f64_e32 v[26:27], v[24:25]
	v_div_fmas_f64 v[20:21], v[20:21], v[22:23], v[28:29]
	v_div_scale_f64 v[22:23], vcc, v[12:13], v[18:19], v[12:13]
	v_fma_f64 v[30:31], -v[24:25], v[26:27], 1.0
	v_div_fixup_f64 v[20:21], v[20:21], v[6:7], v[8:9]
	v_fma_f64 v[26:27], v[26:27], v[30:31], v[26:27]
	ds_read2_b64 v[6:9], v32 offset0:12 offset1:24
	s_waitcnt lgkmcnt(0)
	v_fma_f64 v[10:11], -v[20:21], v[6:7], v[10:11]
	v_fma_f64 v[28:29], -v[24:25], v[26:27], 1.0
	v_fma_f64 v[14:15], -v[20:21], v[8:9], v[14:15]
	ds_read2_b64 v[6:9], v33 offset0:13 offset1:25
	v_mul_f64 v[4:5], v[20:21], -v[4:5]
	s_waitcnt lgkmcnt(0)
	; wave barrier
	v_fma_f64 v[26:27], v[26:27], v[28:29], v[26:27]
	v_mul_f64 v[28:29], v[22:23], v[26:27]
	v_fma_f64 v[22:23], -v[24:25], v[28:29], v[22:23]
	v_div_fmas_f64 v[22:23], v[22:23], v[26:27], v[28:29]
	v_cmp_gt_u32_e32 vcc, 2, v0
	v_div_fixup_f64 v[12:13], v[22:23], v[18:19], v[12:13]
	v_fma_f64 v[10:11], -v[12:13], v[16:17], v[10:11]
	v_mul_f64 v[6:7], v[12:13], -v[6:7]
	v_fma_f64 v[8:9], -v[12:13], v[8:9], v[14:15]
	ds_write2_b64 v3, v[4:5], v[10:11] offset1:6
	ds_write2_b64 v3, v[6:7], v[8:9] offset0:12 offset1:24
	s_waitcnt lgkmcnt(0)
	; wave barrier
	s_and_saveexec_b64 s[0:1], vcc
	s_cbranch_execz .LBB26_2
; %bb.1:
	v_or_b32_e32 v0, 0x60, v3
	ds_read_b64 v[12:13], v0
	ds_read_b64 v[14:15], v3 offset:16
	v_add_u32_e32 v0, 48, v3
	ds_read2_b64 v[4:7], v0 offset1:2
	v_or_b32_e32 v0, 0xc0, v3
	s_waitcnt lgkmcnt(1)
	v_mul_f64 v[8:9], v[12:13], v[14:15]
	s_waitcnt lgkmcnt(0)
	v_fma_f64 v[16:17], v[6:7], v[4:5], -v[8:9]
	v_div_scale_f64 v[8:9], s[2:3], v[16:17], v[16:17], 1.0
	v_rcp_f64_e32 v[10:11], v[8:9]
	v_fma_f64 v[18:19], -v[8:9], v[10:11], 1.0
	v_fma_f64 v[10:11], v[10:11], v[18:19], v[10:11]
	v_div_scale_f64 v[18:19], vcc, 1.0, v[16:17], 1.0
	v_fma_f64 v[20:21], -v[8:9], v[10:11], 1.0
	v_fma_f64 v[10:11], v[10:11], v[20:21], v[10:11]
	v_mul_f64 v[20:21], v[18:19], v[10:11]
	v_fma_f64 v[8:9], -v[8:9], v[20:21], v[18:19]
	v_div_fmas_f64 v[18:19], v[8:9], v[10:11], v[20:21]
	ds_read2_b64 v[8:11], v0 offset1:2
	s_waitcnt lgkmcnt(0)
	v_mul_f64 v[12:13], v[12:13], v[10:11]
	v_mul_f64 v[14:15], v[14:15], v[8:9]
	v_fma_f64 v[6:7], v[6:7], v[8:9], -v[12:13]
	v_fma_f64 v[4:5], v[4:5], v[10:11], -v[14:15]
	v_div_fixup_f64 v[8:9], v[18:19], v[16:17], 1.0
	v_mul_f64 v[6:7], v[8:9], v[6:7]
	v_mul_f64 v[4:5], v[8:9], v[4:5]
	ds_write2_b64 v3, v[6:7], v[4:5] offset0:18 offset1:20
.LBB26_2:
	s_or_b64 exec, exec, s[0:1]
	s_waitcnt lgkmcnt(0)
	; wave barrier
	ds_read_b64 v[3:4], v3 offset:144
	s_waitcnt lgkmcnt(0)
	global_store_dwordx2 v[1:2], v[3:4], off
	s_endpgm
	.section	.rodata,"a",@progbits
	.p2align	6, 0x0
	.amdhsa_kernel _ZN9rocsparseL35gtsv_nopivot_pcr_pow2_shared_kernelILj4EdEEviiiPKT0_S3_S3_PS1_
		.amdhsa_group_segment_fixed_size 232
		.amdhsa_private_segment_fixed_size 0
		.amdhsa_kernarg_size 48
		.amdhsa_user_sgpr_count 6
		.amdhsa_user_sgpr_private_segment_buffer 1
		.amdhsa_user_sgpr_dispatch_ptr 0
		.amdhsa_user_sgpr_queue_ptr 0
		.amdhsa_user_sgpr_kernarg_segment_ptr 1
		.amdhsa_user_sgpr_dispatch_id 0
		.amdhsa_user_sgpr_flat_scratch_init 0
		.amdhsa_user_sgpr_private_segment_size 0
		.amdhsa_uses_dynamic_stack 0
		.amdhsa_system_sgpr_private_segment_wavefront_offset 0
		.amdhsa_system_sgpr_workgroup_id_x 1
		.amdhsa_system_sgpr_workgroup_id_y 0
		.amdhsa_system_sgpr_workgroup_id_z 0
		.amdhsa_system_sgpr_workgroup_info 0
		.amdhsa_system_vgpr_workitem_id 0
		.amdhsa_next_free_vgpr 34
		.amdhsa_next_free_sgpr 16
		.amdhsa_reserve_vcc 1
		.amdhsa_reserve_flat_scratch 0
		.amdhsa_float_round_mode_32 0
		.amdhsa_float_round_mode_16_64 0
		.amdhsa_float_denorm_mode_32 3
		.amdhsa_float_denorm_mode_16_64 3
		.amdhsa_dx10_clamp 1
		.amdhsa_ieee_mode 1
		.amdhsa_fp16_overflow 0
		.amdhsa_exception_fp_ieee_invalid_op 0
		.amdhsa_exception_fp_denorm_src 0
		.amdhsa_exception_fp_ieee_div_zero 0
		.amdhsa_exception_fp_ieee_overflow 0
		.amdhsa_exception_fp_ieee_underflow 0
		.amdhsa_exception_fp_ieee_inexact 0
		.amdhsa_exception_int_div_zero 0
	.end_amdhsa_kernel
	.section	.text._ZN9rocsparseL35gtsv_nopivot_pcr_pow2_shared_kernelILj4EdEEviiiPKT0_S3_S3_PS1_,"axG",@progbits,_ZN9rocsparseL35gtsv_nopivot_pcr_pow2_shared_kernelILj4EdEEviiiPKT0_S3_S3_PS1_,comdat
.Lfunc_end26:
	.size	_ZN9rocsparseL35gtsv_nopivot_pcr_pow2_shared_kernelILj4EdEEviiiPKT0_S3_S3_PS1_, .Lfunc_end26-_ZN9rocsparseL35gtsv_nopivot_pcr_pow2_shared_kernelILj4EdEEviiiPKT0_S3_S3_PS1_
                                        ; -- End function
	.set _ZN9rocsparseL35gtsv_nopivot_pcr_pow2_shared_kernelILj4EdEEviiiPKT0_S3_S3_PS1_.num_vgpr, 34
	.set _ZN9rocsparseL35gtsv_nopivot_pcr_pow2_shared_kernelILj4EdEEviiiPKT0_S3_S3_PS1_.num_agpr, 0
	.set _ZN9rocsparseL35gtsv_nopivot_pcr_pow2_shared_kernelILj4EdEEviiiPKT0_S3_S3_PS1_.numbered_sgpr, 16
	.set _ZN9rocsparseL35gtsv_nopivot_pcr_pow2_shared_kernelILj4EdEEviiiPKT0_S3_S3_PS1_.num_named_barrier, 0
	.set _ZN9rocsparseL35gtsv_nopivot_pcr_pow2_shared_kernelILj4EdEEviiiPKT0_S3_S3_PS1_.private_seg_size, 0
	.set _ZN9rocsparseL35gtsv_nopivot_pcr_pow2_shared_kernelILj4EdEEviiiPKT0_S3_S3_PS1_.uses_vcc, 1
	.set _ZN9rocsparseL35gtsv_nopivot_pcr_pow2_shared_kernelILj4EdEEviiiPKT0_S3_S3_PS1_.uses_flat_scratch, 0
	.set _ZN9rocsparseL35gtsv_nopivot_pcr_pow2_shared_kernelILj4EdEEviiiPKT0_S3_S3_PS1_.has_dyn_sized_stack, 0
	.set _ZN9rocsparseL35gtsv_nopivot_pcr_pow2_shared_kernelILj4EdEEviiiPKT0_S3_S3_PS1_.has_recursion, 0
	.set _ZN9rocsparseL35gtsv_nopivot_pcr_pow2_shared_kernelILj4EdEEviiiPKT0_S3_S3_PS1_.has_indirect_call, 0
	.section	.AMDGPU.csdata,"",@progbits
; Kernel info:
; codeLenInByte = 700
; TotalNumSgprs: 20
; NumVgprs: 34
; ScratchSize: 0
; MemoryBound: 1
; FloatMode: 240
; IeeeMode: 1
; LDSByteSize: 232 bytes/workgroup (compile time only)
; SGPRBlocks: 2
; VGPRBlocks: 8
; NumSGPRsForWavesPerEU: 20
; NumVGPRsForWavesPerEU: 34
; Occupancy: 7
; WaveLimiterHint : 1
; COMPUTE_PGM_RSRC2:SCRATCH_EN: 0
; COMPUTE_PGM_RSRC2:USER_SGPR: 6
; COMPUTE_PGM_RSRC2:TRAP_HANDLER: 0
; COMPUTE_PGM_RSRC2:TGID_X_EN: 1
; COMPUTE_PGM_RSRC2:TGID_Y_EN: 0
; COMPUTE_PGM_RSRC2:TGID_Z_EN: 0
; COMPUTE_PGM_RSRC2:TIDIG_COMP_CNT: 0
	.section	.text._ZN9rocsparseL35gtsv_nopivot_pcr_pow2_shared_kernelILj8EdEEviiiPKT0_S3_S3_PS1_,"axG",@progbits,_ZN9rocsparseL35gtsv_nopivot_pcr_pow2_shared_kernelILj8EdEEviiiPKT0_S3_S3_PS1_,comdat
	.globl	_ZN9rocsparseL35gtsv_nopivot_pcr_pow2_shared_kernelILj8EdEEviiiPKT0_S3_S3_PS1_ ; -- Begin function _ZN9rocsparseL35gtsv_nopivot_pcr_pow2_shared_kernelILj8EdEEviiiPKT0_S3_S3_PS1_
	.p2align	8
	.type	_ZN9rocsparseL35gtsv_nopivot_pcr_pow2_shared_kernelILj8EdEEviiiPKT0_S3_S3_PS1_,@function
_ZN9rocsparseL35gtsv_nopivot_pcr_pow2_shared_kernelILj8EdEEviiiPKT0_S3_S3_PS1_: ; @_ZN9rocsparseL35gtsv_nopivot_pcr_pow2_shared_kernelILj8EdEEviiiPKT0_S3_S3_PS1_
; %bb.0:
	s_load_dwordx8 s[8:15], s[4:5], 0x10
	s_load_dword s0, s[4:5], 0x8
	v_mov_b32_e32 v2, 0
	v_lshlrev_b32_e32 v3, 3, v0
	v_sub_u32_e64 v12, v0, 1 clamp
	s_waitcnt lgkmcnt(0)
	v_mov_b32_e32 v10, s15
	s_mul_i32 s0, s0, s6
	v_add_u32_e32 v1, s0, v0
	v_lshlrev_b64 v[1:2], 3, v[1:2]
	global_load_dwordx2 v[4:5], v3, s[8:9]
	global_load_dwordx2 v[6:7], v3, s[10:11]
	;; [unrolled: 1-line block ×3, first 2 shown]
	v_add_co_u32_e32 v1, vcc, s14, v1
	v_addc_co_u32_e32 v2, vcc, v10, v2, vcc
	global_load_dwordx2 v[10:11], v[1:2], off
	v_lshlrev_b32_e32 v32, 3, v12
	s_waitcnt vmcnt(2)
	ds_write2_b64 v3, v[4:5], v[6:7] offset1:10
	s_waitcnt vmcnt(0)
	ds_write2_b64 v3, v[8:9], v[10:11] offset0:20 offset1:40
	s_waitcnt lgkmcnt(0)
	; wave barrier
	ds_read2_b64 v[4:7], v3 offset1:10
	ds_read2_b64 v[8:11], v32 offset1:10
	s_waitcnt lgkmcnt(0)
	v_div_scale_f64 v[20:21], s[0:1], v[10:11], v[10:11], v[4:5]
	v_div_scale_f64 v[26:27], vcc, v[4:5], v[10:11], v[4:5]
	v_rcp_f64_e32 v[12:13], v[20:21]
	v_fma_f64 v[14:15], -v[20:21], v[12:13], 1.0
	v_fma_f64 v[22:23], v[12:13], v[14:15], v[12:13]
	v_min_u32_e32 v12, 6, v0
	v_lshlrev_b32_e32 v33, 3, v12
	ds_read2_b64 v[12:15], v3 offset0:20 offset1:40
	ds_read2_b64 v[16:19], v33 offset0:1 offset1:11
	v_fma_f64 v[24:25], -v[20:21], v[22:23], 1.0
	v_fma_f64 v[22:23], v[22:23], v[24:25], v[22:23]
	s_waitcnt lgkmcnt(0)
	v_div_scale_f64 v[24:25], s[0:1], v[18:19], v[18:19], v[12:13]
	v_mul_f64 v[28:29], v[26:27], v[22:23]
	v_fma_f64 v[20:21], -v[20:21], v[28:29], v[26:27]
	v_rcp_f64_e32 v[26:27], v[24:25]
	v_div_fmas_f64 v[20:21], v[20:21], v[22:23], v[28:29]
	v_div_scale_f64 v[22:23], vcc, v[12:13], v[18:19], v[12:13]
	v_fma_f64 v[30:31], -v[24:25], v[26:27], 1.0
	v_div_fixup_f64 v[10:11], v[20:21], v[10:11], v[4:5]
	v_fma_f64 v[26:27], v[26:27], v[30:31], v[26:27]
	v_mul_f64 v[8:9], v[10:11], -v[8:9]
	v_fma_f64 v[28:29], -v[24:25], v[26:27], 1.0
	v_fma_f64 v[26:27], v[26:27], v[28:29], v[26:27]
	v_mul_f64 v[28:29], v[22:23], v[26:27]
	v_fma_f64 v[22:23], -v[24:25], v[28:29], v[22:23]
	v_div_fmas_f64 v[24:25], v[22:23], v[26:27], v[28:29]
	ds_read2_b64 v[20:23], v32 offset0:20 offset1:40
	s_waitcnt lgkmcnt(0)
	v_fma_f64 v[14:15], -v[10:11], v[22:23], v[14:15]
	v_div_fixup_f64 v[12:13], v[24:25], v[18:19], v[12:13]
	v_fma_f64 v[18:19], -v[10:11], v[20:21], v[6:7]
	ds_read2_b64 v[4:7], v33 offset0:21 offset1:41
	s_waitcnt lgkmcnt(0)
	; wave barrier
	v_mul_f64 v[4:5], v[12:13], -v[4:5]
	v_fma_f64 v[10:11], -v[12:13], v[16:17], v[18:19]
	v_fma_f64 v[6:7], -v[12:13], v[6:7], v[14:15]
	v_sub_u32_e64 v12, v0, 2 clamp
	v_lshlrev_b32_e32 v32, 3, v12
	ds_write2_b64 v3, v[8:9], v[10:11] offset1:10
	ds_write2_b64 v3, v[4:5], v[6:7] offset0:20 offset1:40
	s_waitcnt lgkmcnt(0)
	; wave barrier
	ds_read2_b64 v[4:7], v3 offset1:10
	ds_read2_b64 v[8:11], v32 offset1:10
	s_waitcnt lgkmcnt(0)
	v_div_scale_f64 v[20:21], s[0:1], v[10:11], v[10:11], v[4:5]
	v_div_scale_f64 v[26:27], vcc, v[4:5], v[10:11], v[4:5]
	v_rcp_f64_e32 v[12:13], v[20:21]
	v_fma_f64 v[14:15], -v[20:21], v[12:13], 1.0
	v_fma_f64 v[22:23], v[12:13], v[14:15], v[12:13]
	v_min_u32_e32 v12, 5, v0
	v_lshlrev_b32_e32 v33, 3, v12
	ds_read2_b64 v[12:15], v3 offset0:20 offset1:40
	ds_read2_b64 v[16:19], v33 offset0:2 offset1:12
	v_fma_f64 v[24:25], -v[20:21], v[22:23], 1.0
	v_fma_f64 v[22:23], v[22:23], v[24:25], v[22:23]
	s_waitcnt lgkmcnt(0)
	v_div_scale_f64 v[24:25], s[0:1], v[18:19], v[18:19], v[12:13]
	v_mul_f64 v[28:29], v[26:27], v[22:23]
	v_fma_f64 v[20:21], -v[20:21], v[28:29], v[26:27]
	v_rcp_f64_e32 v[26:27], v[24:25]
	v_div_fmas_f64 v[20:21], v[20:21], v[22:23], v[28:29]
	v_div_scale_f64 v[22:23], vcc, v[12:13], v[18:19], v[12:13]
	v_fma_f64 v[30:31], -v[24:25], v[26:27], 1.0
	v_div_fixup_f64 v[10:11], v[20:21], v[10:11], v[4:5]
	v_fma_f64 v[26:27], v[26:27], v[30:31], v[26:27]
	v_mul_f64 v[8:9], v[10:11], -v[8:9]
	v_fma_f64 v[28:29], -v[24:25], v[26:27], 1.0
	v_fma_f64 v[26:27], v[26:27], v[28:29], v[26:27]
	v_mul_f64 v[28:29], v[22:23], v[26:27]
	v_fma_f64 v[22:23], -v[24:25], v[28:29], v[22:23]
	v_div_fmas_f64 v[24:25], v[22:23], v[26:27], v[28:29]
	ds_read2_b64 v[20:23], v32 offset0:20 offset1:40
	v_cmp_gt_u32_e32 vcc, 4, v0
	s_waitcnt lgkmcnt(0)
	v_fma_f64 v[14:15], -v[10:11], v[22:23], v[14:15]
	v_div_fixup_f64 v[12:13], v[24:25], v[18:19], v[12:13]
	v_fma_f64 v[18:19], -v[10:11], v[20:21], v[6:7]
	ds_read2_b64 v[4:7], v33 offset0:22 offset1:42
	s_waitcnt lgkmcnt(0)
	; wave barrier
	v_mul_f64 v[4:5], v[12:13], -v[4:5]
	v_fma_f64 v[10:11], -v[12:13], v[16:17], v[18:19]
	v_fma_f64 v[6:7], -v[12:13], v[6:7], v[14:15]
	ds_write2_b64 v3, v[8:9], v[10:11] offset1:10
	ds_write2_b64 v3, v[4:5], v[6:7] offset0:20 offset1:40
	s_waitcnt lgkmcnt(0)
	; wave barrier
	s_and_saveexec_b64 s[0:1], vcc
	s_cbranch_execz .LBB27_2
; %bb.1:
	v_add_u32_e32 v0, 0xa0, v3
	ds_read_b64 v[12:13], v0
	ds_read_b64 v[14:15], v3 offset:32
	v_add_u32_e32 v0, 0x50, v3
	ds_read2_b64 v[4:7], v0 offset1:4
	v_or_b32_e32 v0, 0x140, v3
	s_waitcnt lgkmcnt(1)
	v_mul_f64 v[8:9], v[12:13], v[14:15]
	s_waitcnt lgkmcnt(0)
	v_fma_f64 v[16:17], v[6:7], v[4:5], -v[8:9]
	v_div_scale_f64 v[8:9], s[2:3], v[16:17], v[16:17], 1.0
	v_rcp_f64_e32 v[10:11], v[8:9]
	v_fma_f64 v[18:19], -v[8:9], v[10:11], 1.0
	v_fma_f64 v[10:11], v[10:11], v[18:19], v[10:11]
	v_div_scale_f64 v[18:19], vcc, 1.0, v[16:17], 1.0
	v_fma_f64 v[20:21], -v[8:9], v[10:11], 1.0
	v_fma_f64 v[10:11], v[10:11], v[20:21], v[10:11]
	v_mul_f64 v[20:21], v[18:19], v[10:11]
	v_fma_f64 v[8:9], -v[8:9], v[20:21], v[18:19]
	v_div_fmas_f64 v[18:19], v[8:9], v[10:11], v[20:21]
	ds_read2_b64 v[8:11], v0 offset1:4
	s_waitcnt lgkmcnt(0)
	v_mul_f64 v[12:13], v[12:13], v[10:11]
	v_mul_f64 v[14:15], v[14:15], v[8:9]
	v_fma_f64 v[6:7], v[6:7], v[8:9], -v[12:13]
	v_fma_f64 v[4:5], v[4:5], v[10:11], -v[14:15]
	v_div_fixup_f64 v[8:9], v[18:19], v[16:17], 1.0
	v_mul_f64 v[6:7], v[8:9], v[6:7]
	v_mul_f64 v[4:5], v[8:9], v[4:5]
	ds_write2_b64 v3, v[6:7], v[4:5] offset0:30 offset1:34
.LBB27_2:
	s_or_b64 exec, exec, s[0:1]
	s_waitcnt lgkmcnt(0)
	; wave barrier
	ds_read_b64 v[3:4], v3 offset:240
	s_waitcnt lgkmcnt(0)
	global_store_dwordx2 v[1:2], v[3:4], off
	s_endpgm
	.section	.rodata,"a",@progbits
	.p2align	6, 0x0
	.amdhsa_kernel _ZN9rocsparseL35gtsv_nopivot_pcr_pow2_shared_kernelILj8EdEEviiiPKT0_S3_S3_PS1_
		.amdhsa_group_segment_fixed_size 392
		.amdhsa_private_segment_fixed_size 0
		.amdhsa_kernarg_size 48
		.amdhsa_user_sgpr_count 6
		.amdhsa_user_sgpr_private_segment_buffer 1
		.amdhsa_user_sgpr_dispatch_ptr 0
		.amdhsa_user_sgpr_queue_ptr 0
		.amdhsa_user_sgpr_kernarg_segment_ptr 1
		.amdhsa_user_sgpr_dispatch_id 0
		.amdhsa_user_sgpr_flat_scratch_init 0
		.amdhsa_user_sgpr_private_segment_size 0
		.amdhsa_uses_dynamic_stack 0
		.amdhsa_system_sgpr_private_segment_wavefront_offset 0
		.amdhsa_system_sgpr_workgroup_id_x 1
		.amdhsa_system_sgpr_workgroup_id_y 0
		.amdhsa_system_sgpr_workgroup_id_z 0
		.amdhsa_system_sgpr_workgroup_info 0
		.amdhsa_system_vgpr_workitem_id 0
		.amdhsa_next_free_vgpr 34
		.amdhsa_next_free_sgpr 16
		.amdhsa_reserve_vcc 1
		.amdhsa_reserve_flat_scratch 0
		.amdhsa_float_round_mode_32 0
		.amdhsa_float_round_mode_16_64 0
		.amdhsa_float_denorm_mode_32 3
		.amdhsa_float_denorm_mode_16_64 3
		.amdhsa_dx10_clamp 1
		.amdhsa_ieee_mode 1
		.amdhsa_fp16_overflow 0
		.amdhsa_exception_fp_ieee_invalid_op 0
		.amdhsa_exception_fp_denorm_src 0
		.amdhsa_exception_fp_ieee_div_zero 0
		.amdhsa_exception_fp_ieee_overflow 0
		.amdhsa_exception_fp_ieee_underflow 0
		.amdhsa_exception_fp_ieee_inexact 0
		.amdhsa_exception_int_div_zero 0
	.end_amdhsa_kernel
	.section	.text._ZN9rocsparseL35gtsv_nopivot_pcr_pow2_shared_kernelILj8EdEEviiiPKT0_S3_S3_PS1_,"axG",@progbits,_ZN9rocsparseL35gtsv_nopivot_pcr_pow2_shared_kernelILj8EdEEviiiPKT0_S3_S3_PS1_,comdat
.Lfunc_end27:
	.size	_ZN9rocsparseL35gtsv_nopivot_pcr_pow2_shared_kernelILj8EdEEviiiPKT0_S3_S3_PS1_, .Lfunc_end27-_ZN9rocsparseL35gtsv_nopivot_pcr_pow2_shared_kernelILj8EdEEviiiPKT0_S3_S3_PS1_
                                        ; -- End function
	.set _ZN9rocsparseL35gtsv_nopivot_pcr_pow2_shared_kernelILj8EdEEviiiPKT0_S3_S3_PS1_.num_vgpr, 34
	.set _ZN9rocsparseL35gtsv_nopivot_pcr_pow2_shared_kernelILj8EdEEviiiPKT0_S3_S3_PS1_.num_agpr, 0
	.set _ZN9rocsparseL35gtsv_nopivot_pcr_pow2_shared_kernelILj8EdEEviiiPKT0_S3_S3_PS1_.numbered_sgpr, 16
	.set _ZN9rocsparseL35gtsv_nopivot_pcr_pow2_shared_kernelILj8EdEEviiiPKT0_S3_S3_PS1_.num_named_barrier, 0
	.set _ZN9rocsparseL35gtsv_nopivot_pcr_pow2_shared_kernelILj8EdEEviiiPKT0_S3_S3_PS1_.private_seg_size, 0
	.set _ZN9rocsparseL35gtsv_nopivot_pcr_pow2_shared_kernelILj8EdEEviiiPKT0_S3_S3_PS1_.uses_vcc, 1
	.set _ZN9rocsparseL35gtsv_nopivot_pcr_pow2_shared_kernelILj8EdEEviiiPKT0_S3_S3_PS1_.uses_flat_scratch, 0
	.set _ZN9rocsparseL35gtsv_nopivot_pcr_pow2_shared_kernelILj8EdEEviiiPKT0_S3_S3_PS1_.has_dyn_sized_stack, 0
	.set _ZN9rocsparseL35gtsv_nopivot_pcr_pow2_shared_kernelILj8EdEEviiiPKT0_S3_S3_PS1_.has_recursion, 0
	.set _ZN9rocsparseL35gtsv_nopivot_pcr_pow2_shared_kernelILj8EdEEviiiPKT0_S3_S3_PS1_.has_indirect_call, 0
	.section	.AMDGPU.csdata,"",@progbits
; Kernel info:
; codeLenInByte = 1024
; TotalNumSgprs: 20
; NumVgprs: 34
; ScratchSize: 0
; MemoryBound: 1
; FloatMode: 240
; IeeeMode: 1
; LDSByteSize: 392 bytes/workgroup (compile time only)
; SGPRBlocks: 2
; VGPRBlocks: 8
; NumSGPRsForWavesPerEU: 20
; NumVGPRsForWavesPerEU: 34
; Occupancy: 7
; WaveLimiterHint : 1
; COMPUTE_PGM_RSRC2:SCRATCH_EN: 0
; COMPUTE_PGM_RSRC2:USER_SGPR: 6
; COMPUTE_PGM_RSRC2:TRAP_HANDLER: 0
; COMPUTE_PGM_RSRC2:TGID_X_EN: 1
; COMPUTE_PGM_RSRC2:TGID_Y_EN: 0
; COMPUTE_PGM_RSRC2:TGID_Z_EN: 0
; COMPUTE_PGM_RSRC2:TIDIG_COMP_CNT: 0
	.section	.text._ZN9rocsparseL35gtsv_nopivot_pcr_pow2_shared_kernelILj16EdEEviiiPKT0_S3_S3_PS1_,"axG",@progbits,_ZN9rocsparseL35gtsv_nopivot_pcr_pow2_shared_kernelILj16EdEEviiiPKT0_S3_S3_PS1_,comdat
	.globl	_ZN9rocsparseL35gtsv_nopivot_pcr_pow2_shared_kernelILj16EdEEviiiPKT0_S3_S3_PS1_ ; -- Begin function _ZN9rocsparseL35gtsv_nopivot_pcr_pow2_shared_kernelILj16EdEEviiiPKT0_S3_S3_PS1_
	.p2align	8
	.type	_ZN9rocsparseL35gtsv_nopivot_pcr_pow2_shared_kernelILj16EdEEviiiPKT0_S3_S3_PS1_,@function
_ZN9rocsparseL35gtsv_nopivot_pcr_pow2_shared_kernelILj16EdEEviiiPKT0_S3_S3_PS1_: ; @_ZN9rocsparseL35gtsv_nopivot_pcr_pow2_shared_kernelILj16EdEEviiiPKT0_S3_S3_PS1_
; %bb.0:
	s_load_dwordx8 s[8:15], s[4:5], 0x10
	s_load_dword s0, s[4:5], 0x8
	v_mov_b32_e32 v2, 0
	v_lshlrev_b32_e32 v3, 3, v0
	v_sub_u32_e64 v12, v0, 1 clamp
	s_waitcnt lgkmcnt(0)
	v_mov_b32_e32 v10, s15
	s_mul_i32 s0, s0, s6
	v_add_u32_e32 v1, s0, v0
	v_lshlrev_b64 v[1:2], 3, v[1:2]
	global_load_dwordx2 v[4:5], v3, s[8:9]
	global_load_dwordx2 v[6:7], v3, s[10:11]
	;; [unrolled: 1-line block ×3, first 2 shown]
	v_add_co_u32_e32 v1, vcc, s14, v1
	v_addc_co_u32_e32 v2, vcc, v10, v2, vcc
	global_load_dwordx2 v[10:11], v[1:2], off
	v_lshlrev_b32_e32 v32, 3, v12
	s_waitcnt vmcnt(2)
	ds_write2_b64 v3, v[4:5], v[6:7] offset1:18
	s_waitcnt vmcnt(0)
	ds_write2_b64 v3, v[8:9], v[10:11] offset0:36 offset1:72
	s_waitcnt lgkmcnt(0)
	; wave barrier
	ds_read2_b64 v[4:7], v3 offset1:18
	ds_read2_b64 v[8:11], v32 offset1:18
	s_waitcnt lgkmcnt(0)
	v_div_scale_f64 v[20:21], s[0:1], v[10:11], v[10:11], v[4:5]
	v_div_scale_f64 v[26:27], vcc, v[4:5], v[10:11], v[4:5]
	v_rcp_f64_e32 v[12:13], v[20:21]
	v_fma_f64 v[14:15], -v[20:21], v[12:13], 1.0
	v_fma_f64 v[22:23], v[12:13], v[14:15], v[12:13]
	v_min_u32_e32 v12, 14, v0
	v_lshlrev_b32_e32 v33, 3, v12
	ds_read2_b64 v[12:15], v3 offset0:36 offset1:72
	ds_read2_b64 v[16:19], v33 offset0:1 offset1:19
	v_fma_f64 v[24:25], -v[20:21], v[22:23], 1.0
	v_fma_f64 v[22:23], v[22:23], v[24:25], v[22:23]
	s_waitcnt lgkmcnt(0)
	v_div_scale_f64 v[24:25], s[0:1], v[18:19], v[18:19], v[12:13]
	v_mul_f64 v[28:29], v[26:27], v[22:23]
	v_fma_f64 v[20:21], -v[20:21], v[28:29], v[26:27]
	v_rcp_f64_e32 v[26:27], v[24:25]
	v_div_fmas_f64 v[20:21], v[20:21], v[22:23], v[28:29]
	v_div_scale_f64 v[22:23], vcc, v[12:13], v[18:19], v[12:13]
	v_fma_f64 v[30:31], -v[24:25], v[26:27], 1.0
	v_div_fixup_f64 v[10:11], v[20:21], v[10:11], v[4:5]
	v_fma_f64 v[26:27], v[26:27], v[30:31], v[26:27]
	v_mul_f64 v[8:9], v[10:11], -v[8:9]
	v_fma_f64 v[28:29], -v[24:25], v[26:27], 1.0
	v_fma_f64 v[26:27], v[26:27], v[28:29], v[26:27]
	v_mul_f64 v[28:29], v[22:23], v[26:27]
	v_fma_f64 v[22:23], -v[24:25], v[28:29], v[22:23]
	v_div_fmas_f64 v[24:25], v[22:23], v[26:27], v[28:29]
	ds_read2_b64 v[20:23], v32 offset0:36 offset1:72
	s_waitcnt lgkmcnt(0)
	v_fma_f64 v[14:15], -v[10:11], v[22:23], v[14:15]
	v_div_fixup_f64 v[12:13], v[24:25], v[18:19], v[12:13]
	v_fma_f64 v[18:19], -v[10:11], v[20:21], v[6:7]
	ds_read2_b64 v[4:7], v33 offset0:37 offset1:73
	s_waitcnt lgkmcnt(0)
	; wave barrier
	v_mul_f64 v[4:5], v[12:13], -v[4:5]
	v_fma_f64 v[10:11], -v[12:13], v[16:17], v[18:19]
	v_fma_f64 v[6:7], -v[12:13], v[6:7], v[14:15]
	v_sub_u32_e64 v12, v0, 2 clamp
	v_lshlrev_b32_e32 v32, 3, v12
	ds_write2_b64 v3, v[8:9], v[10:11] offset1:18
	ds_write2_b64 v3, v[4:5], v[6:7] offset0:36 offset1:72
	s_waitcnt lgkmcnt(0)
	; wave barrier
	ds_read2_b64 v[4:7], v3 offset1:18
	ds_read2_b64 v[8:11], v32 offset1:18
	s_waitcnt lgkmcnt(0)
	v_div_scale_f64 v[20:21], s[0:1], v[10:11], v[10:11], v[4:5]
	v_div_scale_f64 v[26:27], vcc, v[4:5], v[10:11], v[4:5]
	v_rcp_f64_e32 v[12:13], v[20:21]
	v_fma_f64 v[14:15], -v[20:21], v[12:13], 1.0
	v_fma_f64 v[22:23], v[12:13], v[14:15], v[12:13]
	v_min_u32_e32 v12, 13, v0
	v_lshlrev_b32_e32 v33, 3, v12
	ds_read2_b64 v[12:15], v3 offset0:36 offset1:72
	ds_read2_b64 v[16:19], v33 offset0:2 offset1:20
	v_fma_f64 v[24:25], -v[20:21], v[22:23], 1.0
	v_fma_f64 v[22:23], v[22:23], v[24:25], v[22:23]
	s_waitcnt lgkmcnt(0)
	v_div_scale_f64 v[24:25], s[0:1], v[18:19], v[18:19], v[12:13]
	v_mul_f64 v[28:29], v[26:27], v[22:23]
	v_fma_f64 v[20:21], -v[20:21], v[28:29], v[26:27]
	v_rcp_f64_e32 v[26:27], v[24:25]
	v_div_fmas_f64 v[20:21], v[20:21], v[22:23], v[28:29]
	v_div_scale_f64 v[22:23], vcc, v[12:13], v[18:19], v[12:13]
	v_fma_f64 v[30:31], -v[24:25], v[26:27], 1.0
	v_div_fixup_f64 v[10:11], v[20:21], v[10:11], v[4:5]
	v_fma_f64 v[26:27], v[26:27], v[30:31], v[26:27]
	v_mul_f64 v[8:9], v[10:11], -v[8:9]
	v_fma_f64 v[28:29], -v[24:25], v[26:27], 1.0
	v_fma_f64 v[26:27], v[26:27], v[28:29], v[26:27]
	v_mul_f64 v[28:29], v[22:23], v[26:27]
	v_fma_f64 v[22:23], -v[24:25], v[28:29], v[22:23]
	v_div_fmas_f64 v[24:25], v[22:23], v[26:27], v[28:29]
	ds_read2_b64 v[20:23], v32 offset0:36 offset1:72
	s_waitcnt lgkmcnt(0)
	v_fma_f64 v[14:15], -v[10:11], v[22:23], v[14:15]
	v_div_fixup_f64 v[12:13], v[24:25], v[18:19], v[12:13]
	v_fma_f64 v[18:19], -v[10:11], v[20:21], v[6:7]
	ds_read2_b64 v[4:7], v33 offset0:38 offset1:74
	s_waitcnt lgkmcnt(0)
	; wave barrier
	v_mul_f64 v[4:5], v[12:13], -v[4:5]
	v_fma_f64 v[10:11], -v[12:13], v[16:17], v[18:19]
	v_fma_f64 v[6:7], -v[12:13], v[6:7], v[14:15]
	v_sub_u32_e64 v12, v0, 4 clamp
	v_lshlrev_b32_e32 v32, 3, v12
	ds_write2_b64 v3, v[8:9], v[10:11] offset1:18
	ds_write2_b64 v3, v[4:5], v[6:7] offset0:36 offset1:72
	s_waitcnt lgkmcnt(0)
	; wave barrier
	ds_read2_b64 v[4:7], v3 offset1:18
	ds_read2_b64 v[8:11], v32 offset1:18
	s_waitcnt lgkmcnt(0)
	v_div_scale_f64 v[20:21], s[0:1], v[10:11], v[10:11], v[4:5]
	v_div_scale_f64 v[26:27], vcc, v[4:5], v[10:11], v[4:5]
	v_rcp_f64_e32 v[12:13], v[20:21]
	v_fma_f64 v[14:15], -v[20:21], v[12:13], 1.0
	v_fma_f64 v[22:23], v[12:13], v[14:15], v[12:13]
	v_min_u32_e32 v12, 11, v0
	v_lshlrev_b32_e32 v33, 3, v12
	ds_read2_b64 v[12:15], v3 offset0:36 offset1:72
	ds_read2_b64 v[16:19], v33 offset0:4 offset1:22
	v_fma_f64 v[24:25], -v[20:21], v[22:23], 1.0
	v_fma_f64 v[22:23], v[22:23], v[24:25], v[22:23]
	s_waitcnt lgkmcnt(0)
	v_div_scale_f64 v[24:25], s[0:1], v[18:19], v[18:19], v[12:13]
	v_mul_f64 v[28:29], v[26:27], v[22:23]
	v_fma_f64 v[20:21], -v[20:21], v[28:29], v[26:27]
	v_rcp_f64_e32 v[26:27], v[24:25]
	v_div_fmas_f64 v[20:21], v[20:21], v[22:23], v[28:29]
	v_div_scale_f64 v[22:23], vcc, v[12:13], v[18:19], v[12:13]
	v_fma_f64 v[30:31], -v[24:25], v[26:27], 1.0
	v_div_fixup_f64 v[10:11], v[20:21], v[10:11], v[4:5]
	v_fma_f64 v[26:27], v[26:27], v[30:31], v[26:27]
	v_mul_f64 v[8:9], v[10:11], -v[8:9]
	v_fma_f64 v[28:29], -v[24:25], v[26:27], 1.0
	v_fma_f64 v[26:27], v[26:27], v[28:29], v[26:27]
	v_mul_f64 v[28:29], v[22:23], v[26:27]
	v_fma_f64 v[22:23], -v[24:25], v[28:29], v[22:23]
	v_div_fmas_f64 v[24:25], v[22:23], v[26:27], v[28:29]
	ds_read2_b64 v[20:23], v32 offset0:36 offset1:72
	v_cmp_gt_u32_e32 vcc, 8, v0
	s_waitcnt lgkmcnt(0)
	v_fma_f64 v[14:15], -v[10:11], v[22:23], v[14:15]
	v_div_fixup_f64 v[12:13], v[24:25], v[18:19], v[12:13]
	v_fma_f64 v[18:19], -v[10:11], v[20:21], v[6:7]
	ds_read2_b64 v[4:7], v33 offset0:40 offset1:76
	s_waitcnt lgkmcnt(0)
	; wave barrier
	v_mul_f64 v[4:5], v[12:13], -v[4:5]
	v_fma_f64 v[10:11], -v[12:13], v[16:17], v[18:19]
	v_fma_f64 v[6:7], -v[12:13], v[6:7], v[14:15]
	ds_write2_b64 v3, v[8:9], v[10:11] offset1:18
	ds_write2_b64 v3, v[4:5], v[6:7] offset0:36 offset1:72
	s_waitcnt lgkmcnt(0)
	; wave barrier
	s_and_saveexec_b64 s[0:1], vcc
	s_cbranch_execz .LBB28_2
; %bb.1:
	v_add_u32_e32 v0, 0x120, v3
	ds_read_b64 v[12:13], v0
	ds_read_b64 v[14:15], v3 offset:64
	v_add_u32_e32 v0, 0x90, v3
	ds_read2_b64 v[4:7], v0 offset1:8
	v_add_u32_e32 v0, 0x240, v3
	s_waitcnt lgkmcnt(1)
	v_mul_f64 v[8:9], v[12:13], v[14:15]
	s_waitcnt lgkmcnt(0)
	v_fma_f64 v[16:17], v[6:7], v[4:5], -v[8:9]
	v_div_scale_f64 v[8:9], s[2:3], v[16:17], v[16:17], 1.0
	v_rcp_f64_e32 v[10:11], v[8:9]
	v_fma_f64 v[18:19], -v[8:9], v[10:11], 1.0
	v_fma_f64 v[10:11], v[10:11], v[18:19], v[10:11]
	v_div_scale_f64 v[18:19], vcc, 1.0, v[16:17], 1.0
	v_fma_f64 v[20:21], -v[8:9], v[10:11], 1.0
	v_fma_f64 v[10:11], v[10:11], v[20:21], v[10:11]
	v_mul_f64 v[20:21], v[18:19], v[10:11]
	v_fma_f64 v[8:9], -v[8:9], v[20:21], v[18:19]
	v_div_fmas_f64 v[18:19], v[8:9], v[10:11], v[20:21]
	ds_read2_b64 v[8:11], v0 offset1:8
	s_waitcnt lgkmcnt(0)
	v_mul_f64 v[12:13], v[12:13], v[10:11]
	v_mul_f64 v[14:15], v[14:15], v[8:9]
	v_fma_f64 v[6:7], v[6:7], v[8:9], -v[12:13]
	v_fma_f64 v[4:5], v[4:5], v[10:11], -v[14:15]
	v_div_fixup_f64 v[8:9], v[18:19], v[16:17], 1.0
	v_mul_f64 v[6:7], v[8:9], v[6:7]
	v_mul_f64 v[4:5], v[8:9], v[4:5]
	ds_write2_b64 v3, v[6:7], v[4:5] offset0:54 offset1:62
.LBB28_2:
	s_or_b64 exec, exec, s[0:1]
	s_waitcnt lgkmcnt(0)
	; wave barrier
	ds_read_b64 v[3:4], v3 offset:432
	s_waitcnt lgkmcnt(0)
	global_store_dwordx2 v[1:2], v[3:4], off
	s_endpgm
	.section	.rodata,"a",@progbits
	.p2align	6, 0x0
	.amdhsa_kernel _ZN9rocsparseL35gtsv_nopivot_pcr_pow2_shared_kernelILj16EdEEviiiPKT0_S3_S3_PS1_
		.amdhsa_group_segment_fixed_size 712
		.amdhsa_private_segment_fixed_size 0
		.amdhsa_kernarg_size 48
		.amdhsa_user_sgpr_count 6
		.amdhsa_user_sgpr_private_segment_buffer 1
		.amdhsa_user_sgpr_dispatch_ptr 0
		.amdhsa_user_sgpr_queue_ptr 0
		.amdhsa_user_sgpr_kernarg_segment_ptr 1
		.amdhsa_user_sgpr_dispatch_id 0
		.amdhsa_user_sgpr_flat_scratch_init 0
		.amdhsa_user_sgpr_private_segment_size 0
		.amdhsa_uses_dynamic_stack 0
		.amdhsa_system_sgpr_private_segment_wavefront_offset 0
		.amdhsa_system_sgpr_workgroup_id_x 1
		.amdhsa_system_sgpr_workgroup_id_y 0
		.amdhsa_system_sgpr_workgroup_id_z 0
		.amdhsa_system_sgpr_workgroup_info 0
		.amdhsa_system_vgpr_workitem_id 0
		.amdhsa_next_free_vgpr 34
		.amdhsa_next_free_sgpr 16
		.amdhsa_reserve_vcc 1
		.amdhsa_reserve_flat_scratch 0
		.amdhsa_float_round_mode_32 0
		.amdhsa_float_round_mode_16_64 0
		.amdhsa_float_denorm_mode_32 3
		.amdhsa_float_denorm_mode_16_64 3
		.amdhsa_dx10_clamp 1
		.amdhsa_ieee_mode 1
		.amdhsa_fp16_overflow 0
		.amdhsa_exception_fp_ieee_invalid_op 0
		.amdhsa_exception_fp_denorm_src 0
		.amdhsa_exception_fp_ieee_div_zero 0
		.amdhsa_exception_fp_ieee_overflow 0
		.amdhsa_exception_fp_ieee_underflow 0
		.amdhsa_exception_fp_ieee_inexact 0
		.amdhsa_exception_int_div_zero 0
	.end_amdhsa_kernel
	.section	.text._ZN9rocsparseL35gtsv_nopivot_pcr_pow2_shared_kernelILj16EdEEviiiPKT0_S3_S3_PS1_,"axG",@progbits,_ZN9rocsparseL35gtsv_nopivot_pcr_pow2_shared_kernelILj16EdEEviiiPKT0_S3_S3_PS1_,comdat
.Lfunc_end28:
	.size	_ZN9rocsparseL35gtsv_nopivot_pcr_pow2_shared_kernelILj16EdEEviiiPKT0_S3_S3_PS1_, .Lfunc_end28-_ZN9rocsparseL35gtsv_nopivot_pcr_pow2_shared_kernelILj16EdEEviiiPKT0_S3_S3_PS1_
                                        ; -- End function
	.set _ZN9rocsparseL35gtsv_nopivot_pcr_pow2_shared_kernelILj16EdEEviiiPKT0_S3_S3_PS1_.num_vgpr, 34
	.set _ZN9rocsparseL35gtsv_nopivot_pcr_pow2_shared_kernelILj16EdEEviiiPKT0_S3_S3_PS1_.num_agpr, 0
	.set _ZN9rocsparseL35gtsv_nopivot_pcr_pow2_shared_kernelILj16EdEEviiiPKT0_S3_S3_PS1_.numbered_sgpr, 16
	.set _ZN9rocsparseL35gtsv_nopivot_pcr_pow2_shared_kernelILj16EdEEviiiPKT0_S3_S3_PS1_.num_named_barrier, 0
	.set _ZN9rocsparseL35gtsv_nopivot_pcr_pow2_shared_kernelILj16EdEEviiiPKT0_S3_S3_PS1_.private_seg_size, 0
	.set _ZN9rocsparseL35gtsv_nopivot_pcr_pow2_shared_kernelILj16EdEEviiiPKT0_S3_S3_PS1_.uses_vcc, 1
	.set _ZN9rocsparseL35gtsv_nopivot_pcr_pow2_shared_kernelILj16EdEEviiiPKT0_S3_S3_PS1_.uses_flat_scratch, 0
	.set _ZN9rocsparseL35gtsv_nopivot_pcr_pow2_shared_kernelILj16EdEEviiiPKT0_S3_S3_PS1_.has_dyn_sized_stack, 0
	.set _ZN9rocsparseL35gtsv_nopivot_pcr_pow2_shared_kernelILj16EdEEviiiPKT0_S3_S3_PS1_.has_recursion, 0
	.set _ZN9rocsparseL35gtsv_nopivot_pcr_pow2_shared_kernelILj16EdEEviiiPKT0_S3_S3_PS1_.has_indirect_call, 0
	.section	.AMDGPU.csdata,"",@progbits
; Kernel info:
; codeLenInByte = 1344
; TotalNumSgprs: 20
; NumVgprs: 34
; ScratchSize: 0
; MemoryBound: 1
; FloatMode: 240
; IeeeMode: 1
; LDSByteSize: 712 bytes/workgroup (compile time only)
; SGPRBlocks: 2
; VGPRBlocks: 8
; NumSGPRsForWavesPerEU: 20
; NumVGPRsForWavesPerEU: 34
; Occupancy: 7
; WaveLimiterHint : 1
; COMPUTE_PGM_RSRC2:SCRATCH_EN: 0
; COMPUTE_PGM_RSRC2:USER_SGPR: 6
; COMPUTE_PGM_RSRC2:TRAP_HANDLER: 0
; COMPUTE_PGM_RSRC2:TGID_X_EN: 1
; COMPUTE_PGM_RSRC2:TGID_Y_EN: 0
; COMPUTE_PGM_RSRC2:TGID_Z_EN: 0
; COMPUTE_PGM_RSRC2:TIDIG_COMP_CNT: 0
	.section	.text._ZN9rocsparseL35gtsv_nopivot_pcr_pow2_shared_kernelILj32EdEEviiiPKT0_S3_S3_PS1_,"axG",@progbits,_ZN9rocsparseL35gtsv_nopivot_pcr_pow2_shared_kernelILj32EdEEviiiPKT0_S3_S3_PS1_,comdat
	.globl	_ZN9rocsparseL35gtsv_nopivot_pcr_pow2_shared_kernelILj32EdEEviiiPKT0_S3_S3_PS1_ ; -- Begin function _ZN9rocsparseL35gtsv_nopivot_pcr_pow2_shared_kernelILj32EdEEviiiPKT0_S3_S3_PS1_
	.p2align	8
	.type	_ZN9rocsparseL35gtsv_nopivot_pcr_pow2_shared_kernelILj32EdEEviiiPKT0_S3_S3_PS1_,@function
_ZN9rocsparseL35gtsv_nopivot_pcr_pow2_shared_kernelILj32EdEEviiiPKT0_S3_S3_PS1_: ; @_ZN9rocsparseL35gtsv_nopivot_pcr_pow2_shared_kernelILj32EdEEviiiPKT0_S3_S3_PS1_
; %bb.0:
	s_load_dwordx8 s[8:15], s[4:5], 0x10
	s_load_dword s0, s[4:5], 0x8
	v_mov_b32_e32 v2, 0
	v_lshlrev_b32_e32 v3, 3, v0
	v_sub_u32_e64 v12, v0, 1 clamp
	s_waitcnt lgkmcnt(0)
	v_mov_b32_e32 v10, s15
	s_mul_i32 s0, s0, s6
	v_add_u32_e32 v1, s0, v0
	v_lshlrev_b64 v[1:2], 3, v[1:2]
	global_load_dwordx2 v[4:5], v3, s[8:9]
	global_load_dwordx2 v[6:7], v3, s[10:11]
	;; [unrolled: 1-line block ×3, first 2 shown]
	v_add_co_u32_e32 v1, vcc, s14, v1
	v_addc_co_u32_e32 v2, vcc, v10, v2, vcc
	global_load_dwordx2 v[10:11], v[1:2], off
	v_lshlrev_b32_e32 v32, 3, v12
	s_waitcnt vmcnt(2)
	ds_write2_b64 v3, v[4:5], v[6:7] offset1:34
	s_waitcnt vmcnt(0)
	ds_write2_b64 v3, v[8:9], v[10:11] offset0:68 offset1:136
	s_waitcnt lgkmcnt(0)
	; wave barrier
	ds_read2_b64 v[4:7], v3 offset1:34
	ds_read2_b64 v[8:11], v32 offset1:34
	s_waitcnt lgkmcnt(0)
	v_div_scale_f64 v[20:21], s[0:1], v[10:11], v[10:11], v[4:5]
	v_div_scale_f64 v[26:27], vcc, v[4:5], v[10:11], v[4:5]
	v_rcp_f64_e32 v[12:13], v[20:21]
	v_fma_f64 v[14:15], -v[20:21], v[12:13], 1.0
	v_fma_f64 v[22:23], v[12:13], v[14:15], v[12:13]
	v_min_u32_e32 v12, 30, v0
	v_lshlrev_b32_e32 v33, 3, v12
	ds_read2_b64 v[12:15], v3 offset0:68 offset1:136
	ds_read2_b64 v[16:19], v33 offset0:1 offset1:35
	v_fma_f64 v[24:25], -v[20:21], v[22:23], 1.0
	v_fma_f64 v[22:23], v[22:23], v[24:25], v[22:23]
	s_waitcnt lgkmcnt(0)
	v_div_scale_f64 v[24:25], s[0:1], v[18:19], v[18:19], v[12:13]
	v_mul_f64 v[28:29], v[26:27], v[22:23]
	v_fma_f64 v[20:21], -v[20:21], v[28:29], v[26:27]
	v_rcp_f64_e32 v[26:27], v[24:25]
	v_div_fmas_f64 v[20:21], v[20:21], v[22:23], v[28:29]
	v_div_scale_f64 v[22:23], vcc, v[12:13], v[18:19], v[12:13]
	v_fma_f64 v[30:31], -v[24:25], v[26:27], 1.0
	v_div_fixup_f64 v[10:11], v[20:21], v[10:11], v[4:5]
	v_fma_f64 v[26:27], v[26:27], v[30:31], v[26:27]
	v_mul_f64 v[8:9], v[10:11], -v[8:9]
	v_fma_f64 v[28:29], -v[24:25], v[26:27], 1.0
	v_fma_f64 v[26:27], v[26:27], v[28:29], v[26:27]
	v_mul_f64 v[28:29], v[22:23], v[26:27]
	v_fma_f64 v[22:23], -v[24:25], v[28:29], v[22:23]
	v_div_fmas_f64 v[24:25], v[22:23], v[26:27], v[28:29]
	ds_read2_b64 v[20:23], v32 offset0:68 offset1:136
	s_waitcnt lgkmcnt(0)
	v_fma_f64 v[14:15], -v[10:11], v[22:23], v[14:15]
	v_div_fixup_f64 v[12:13], v[24:25], v[18:19], v[12:13]
	v_fma_f64 v[18:19], -v[10:11], v[20:21], v[6:7]
	ds_read2_b64 v[4:7], v33 offset0:69 offset1:137
	s_waitcnt lgkmcnt(0)
	; wave barrier
	v_mul_f64 v[4:5], v[12:13], -v[4:5]
	v_fma_f64 v[10:11], -v[12:13], v[16:17], v[18:19]
	v_fma_f64 v[6:7], -v[12:13], v[6:7], v[14:15]
	v_sub_u32_e64 v12, v0, 2 clamp
	v_lshlrev_b32_e32 v32, 3, v12
	ds_write2_b64 v3, v[8:9], v[10:11] offset1:34
	ds_write2_b64 v3, v[4:5], v[6:7] offset0:68 offset1:136
	s_waitcnt lgkmcnt(0)
	; wave barrier
	ds_read2_b64 v[4:7], v3 offset1:34
	ds_read2_b64 v[8:11], v32 offset1:34
	s_waitcnt lgkmcnt(0)
	v_div_scale_f64 v[20:21], s[0:1], v[10:11], v[10:11], v[4:5]
	v_div_scale_f64 v[26:27], vcc, v[4:5], v[10:11], v[4:5]
	v_rcp_f64_e32 v[12:13], v[20:21]
	v_fma_f64 v[14:15], -v[20:21], v[12:13], 1.0
	v_fma_f64 v[22:23], v[12:13], v[14:15], v[12:13]
	v_min_u32_e32 v12, 29, v0
	v_lshlrev_b32_e32 v33, 3, v12
	ds_read2_b64 v[12:15], v3 offset0:68 offset1:136
	ds_read2_b64 v[16:19], v33 offset0:2 offset1:36
	v_fma_f64 v[24:25], -v[20:21], v[22:23], 1.0
	v_fma_f64 v[22:23], v[22:23], v[24:25], v[22:23]
	s_waitcnt lgkmcnt(0)
	v_div_scale_f64 v[24:25], s[0:1], v[18:19], v[18:19], v[12:13]
	v_mul_f64 v[28:29], v[26:27], v[22:23]
	v_fma_f64 v[20:21], -v[20:21], v[28:29], v[26:27]
	v_rcp_f64_e32 v[26:27], v[24:25]
	v_div_fmas_f64 v[20:21], v[20:21], v[22:23], v[28:29]
	v_div_scale_f64 v[22:23], vcc, v[12:13], v[18:19], v[12:13]
	v_fma_f64 v[30:31], -v[24:25], v[26:27], 1.0
	v_div_fixup_f64 v[10:11], v[20:21], v[10:11], v[4:5]
	v_fma_f64 v[26:27], v[26:27], v[30:31], v[26:27]
	v_mul_f64 v[8:9], v[10:11], -v[8:9]
	v_fma_f64 v[28:29], -v[24:25], v[26:27], 1.0
	v_fma_f64 v[26:27], v[26:27], v[28:29], v[26:27]
	v_mul_f64 v[28:29], v[22:23], v[26:27]
	v_fma_f64 v[22:23], -v[24:25], v[28:29], v[22:23]
	v_div_fmas_f64 v[24:25], v[22:23], v[26:27], v[28:29]
	ds_read2_b64 v[20:23], v32 offset0:68 offset1:136
	s_waitcnt lgkmcnt(0)
	v_fma_f64 v[14:15], -v[10:11], v[22:23], v[14:15]
	v_div_fixup_f64 v[12:13], v[24:25], v[18:19], v[12:13]
	v_fma_f64 v[18:19], -v[10:11], v[20:21], v[6:7]
	ds_read2_b64 v[4:7], v33 offset0:70 offset1:138
	s_waitcnt lgkmcnt(0)
	; wave barrier
	v_mul_f64 v[4:5], v[12:13], -v[4:5]
	v_fma_f64 v[10:11], -v[12:13], v[16:17], v[18:19]
	v_fma_f64 v[6:7], -v[12:13], v[6:7], v[14:15]
	v_sub_u32_e64 v12, v0, 4 clamp
	v_lshlrev_b32_e32 v32, 3, v12
	ds_write2_b64 v3, v[8:9], v[10:11] offset1:34
	;; [unrolled: 47-line block ×3, first 2 shown]
	ds_write2_b64 v3, v[4:5], v[6:7] offset0:68 offset1:136
	s_waitcnt lgkmcnt(0)
	; wave barrier
	ds_read2_b64 v[4:7], v3 offset1:34
	ds_read2_b64 v[8:11], v32 offset1:34
	s_waitcnt lgkmcnt(0)
	v_div_scale_f64 v[20:21], s[0:1], v[10:11], v[10:11], v[4:5]
	v_div_scale_f64 v[26:27], vcc, v[4:5], v[10:11], v[4:5]
	v_rcp_f64_e32 v[12:13], v[20:21]
	v_fma_f64 v[14:15], -v[20:21], v[12:13], 1.0
	v_fma_f64 v[22:23], v[12:13], v[14:15], v[12:13]
	v_min_u32_e32 v12, 23, v0
	v_lshlrev_b32_e32 v33, 3, v12
	ds_read2_b64 v[12:15], v3 offset0:68 offset1:136
	ds_read2_b64 v[16:19], v33 offset0:8 offset1:42
	v_fma_f64 v[24:25], -v[20:21], v[22:23], 1.0
	v_fma_f64 v[22:23], v[22:23], v[24:25], v[22:23]
	s_waitcnt lgkmcnt(0)
	v_div_scale_f64 v[24:25], s[0:1], v[18:19], v[18:19], v[12:13]
	v_mul_f64 v[28:29], v[26:27], v[22:23]
	v_fma_f64 v[20:21], -v[20:21], v[28:29], v[26:27]
	v_rcp_f64_e32 v[26:27], v[24:25]
	v_div_fmas_f64 v[20:21], v[20:21], v[22:23], v[28:29]
	v_div_scale_f64 v[22:23], vcc, v[12:13], v[18:19], v[12:13]
	v_fma_f64 v[30:31], -v[24:25], v[26:27], 1.0
	v_div_fixup_f64 v[10:11], v[20:21], v[10:11], v[4:5]
	v_fma_f64 v[26:27], v[26:27], v[30:31], v[26:27]
	v_mul_f64 v[8:9], v[10:11], -v[8:9]
	v_fma_f64 v[28:29], -v[24:25], v[26:27], 1.0
	v_fma_f64 v[26:27], v[26:27], v[28:29], v[26:27]
	v_mul_f64 v[28:29], v[22:23], v[26:27]
	v_fma_f64 v[22:23], -v[24:25], v[28:29], v[22:23]
	v_div_fmas_f64 v[24:25], v[22:23], v[26:27], v[28:29]
	ds_read2_b64 v[20:23], v32 offset0:68 offset1:136
	v_cmp_gt_u32_e32 vcc, 16, v0
	s_waitcnt lgkmcnt(0)
	v_fma_f64 v[14:15], -v[10:11], v[22:23], v[14:15]
	v_div_fixup_f64 v[12:13], v[24:25], v[18:19], v[12:13]
	v_fma_f64 v[18:19], -v[10:11], v[20:21], v[6:7]
	ds_read2_b64 v[4:7], v33 offset0:76 offset1:144
	s_waitcnt lgkmcnt(0)
	; wave barrier
	v_mul_f64 v[4:5], v[12:13], -v[4:5]
	v_fma_f64 v[10:11], -v[12:13], v[16:17], v[18:19]
	v_fma_f64 v[6:7], -v[12:13], v[6:7], v[14:15]
	ds_write2_b64 v3, v[8:9], v[10:11] offset1:34
	ds_write2_b64 v3, v[4:5], v[6:7] offset0:68 offset1:136
	s_waitcnt lgkmcnt(0)
	; wave barrier
	s_and_saveexec_b64 s[0:1], vcc
	s_cbranch_execz .LBB29_2
; %bb.1:
	v_add_u32_e32 v0, 0x220, v3
	ds_read_b64 v[12:13], v0
	ds_read_b64 v[14:15], v3 offset:128
	v_add_u32_e32 v0, 0x110, v3
	ds_read2_b64 v[4:7], v0 offset1:16
	v_add_u32_e32 v0, 0x440, v3
	s_waitcnt lgkmcnt(1)
	v_mul_f64 v[8:9], v[12:13], v[14:15]
	s_waitcnt lgkmcnt(0)
	v_fma_f64 v[16:17], v[6:7], v[4:5], -v[8:9]
	v_div_scale_f64 v[8:9], s[2:3], v[16:17], v[16:17], 1.0
	v_rcp_f64_e32 v[10:11], v[8:9]
	v_fma_f64 v[18:19], -v[8:9], v[10:11], 1.0
	v_fma_f64 v[10:11], v[10:11], v[18:19], v[10:11]
	v_div_scale_f64 v[18:19], vcc, 1.0, v[16:17], 1.0
	v_fma_f64 v[20:21], -v[8:9], v[10:11], 1.0
	v_fma_f64 v[10:11], v[10:11], v[20:21], v[10:11]
	v_mul_f64 v[20:21], v[18:19], v[10:11]
	v_fma_f64 v[8:9], -v[8:9], v[20:21], v[18:19]
	v_div_fmas_f64 v[18:19], v[8:9], v[10:11], v[20:21]
	ds_read2_b64 v[8:11], v0 offset1:16
	s_waitcnt lgkmcnt(0)
	v_mul_f64 v[12:13], v[12:13], v[10:11]
	v_mul_f64 v[14:15], v[14:15], v[8:9]
	v_fma_f64 v[6:7], v[6:7], v[8:9], -v[12:13]
	v_fma_f64 v[4:5], v[4:5], v[10:11], -v[14:15]
	v_div_fixup_f64 v[8:9], v[18:19], v[16:17], 1.0
	v_mul_f64 v[6:7], v[8:9], v[6:7]
	v_mul_f64 v[4:5], v[8:9], v[4:5]
	ds_write2_b64 v3, v[6:7], v[4:5] offset0:102 offset1:118
.LBB29_2:
	s_or_b64 exec, exec, s[0:1]
	s_waitcnt lgkmcnt(0)
	; wave barrier
	ds_read_b64 v[3:4], v3 offset:816
	s_waitcnt lgkmcnt(0)
	global_store_dwordx2 v[1:2], v[3:4], off
	s_endpgm
	.section	.rodata,"a",@progbits
	.p2align	6, 0x0
	.amdhsa_kernel _ZN9rocsparseL35gtsv_nopivot_pcr_pow2_shared_kernelILj32EdEEviiiPKT0_S3_S3_PS1_
		.amdhsa_group_segment_fixed_size 1352
		.amdhsa_private_segment_fixed_size 0
		.amdhsa_kernarg_size 48
		.amdhsa_user_sgpr_count 6
		.amdhsa_user_sgpr_private_segment_buffer 1
		.amdhsa_user_sgpr_dispatch_ptr 0
		.amdhsa_user_sgpr_queue_ptr 0
		.amdhsa_user_sgpr_kernarg_segment_ptr 1
		.amdhsa_user_sgpr_dispatch_id 0
		.amdhsa_user_sgpr_flat_scratch_init 0
		.amdhsa_user_sgpr_private_segment_size 0
		.amdhsa_uses_dynamic_stack 0
		.amdhsa_system_sgpr_private_segment_wavefront_offset 0
		.amdhsa_system_sgpr_workgroup_id_x 1
		.amdhsa_system_sgpr_workgroup_id_y 0
		.amdhsa_system_sgpr_workgroup_id_z 0
		.amdhsa_system_sgpr_workgroup_info 0
		.amdhsa_system_vgpr_workitem_id 0
		.amdhsa_next_free_vgpr 34
		.amdhsa_next_free_sgpr 16
		.amdhsa_reserve_vcc 1
		.amdhsa_reserve_flat_scratch 0
		.amdhsa_float_round_mode_32 0
		.amdhsa_float_round_mode_16_64 0
		.amdhsa_float_denorm_mode_32 3
		.amdhsa_float_denorm_mode_16_64 3
		.amdhsa_dx10_clamp 1
		.amdhsa_ieee_mode 1
		.amdhsa_fp16_overflow 0
		.amdhsa_exception_fp_ieee_invalid_op 0
		.amdhsa_exception_fp_denorm_src 0
		.amdhsa_exception_fp_ieee_div_zero 0
		.amdhsa_exception_fp_ieee_overflow 0
		.amdhsa_exception_fp_ieee_underflow 0
		.amdhsa_exception_fp_ieee_inexact 0
		.amdhsa_exception_int_div_zero 0
	.end_amdhsa_kernel
	.section	.text._ZN9rocsparseL35gtsv_nopivot_pcr_pow2_shared_kernelILj32EdEEviiiPKT0_S3_S3_PS1_,"axG",@progbits,_ZN9rocsparseL35gtsv_nopivot_pcr_pow2_shared_kernelILj32EdEEviiiPKT0_S3_S3_PS1_,comdat
.Lfunc_end29:
	.size	_ZN9rocsparseL35gtsv_nopivot_pcr_pow2_shared_kernelILj32EdEEviiiPKT0_S3_S3_PS1_, .Lfunc_end29-_ZN9rocsparseL35gtsv_nopivot_pcr_pow2_shared_kernelILj32EdEEviiiPKT0_S3_S3_PS1_
                                        ; -- End function
	.set _ZN9rocsparseL35gtsv_nopivot_pcr_pow2_shared_kernelILj32EdEEviiiPKT0_S3_S3_PS1_.num_vgpr, 34
	.set _ZN9rocsparseL35gtsv_nopivot_pcr_pow2_shared_kernelILj32EdEEviiiPKT0_S3_S3_PS1_.num_agpr, 0
	.set _ZN9rocsparseL35gtsv_nopivot_pcr_pow2_shared_kernelILj32EdEEviiiPKT0_S3_S3_PS1_.numbered_sgpr, 16
	.set _ZN9rocsparseL35gtsv_nopivot_pcr_pow2_shared_kernelILj32EdEEviiiPKT0_S3_S3_PS1_.num_named_barrier, 0
	.set _ZN9rocsparseL35gtsv_nopivot_pcr_pow2_shared_kernelILj32EdEEviiiPKT0_S3_S3_PS1_.private_seg_size, 0
	.set _ZN9rocsparseL35gtsv_nopivot_pcr_pow2_shared_kernelILj32EdEEviiiPKT0_S3_S3_PS1_.uses_vcc, 1
	.set _ZN9rocsparseL35gtsv_nopivot_pcr_pow2_shared_kernelILj32EdEEviiiPKT0_S3_S3_PS1_.uses_flat_scratch, 0
	.set _ZN9rocsparseL35gtsv_nopivot_pcr_pow2_shared_kernelILj32EdEEviiiPKT0_S3_S3_PS1_.has_dyn_sized_stack, 0
	.set _ZN9rocsparseL35gtsv_nopivot_pcr_pow2_shared_kernelILj32EdEEviiiPKT0_S3_S3_PS1_.has_recursion, 0
	.set _ZN9rocsparseL35gtsv_nopivot_pcr_pow2_shared_kernelILj32EdEEviiiPKT0_S3_S3_PS1_.has_indirect_call, 0
	.section	.AMDGPU.csdata,"",@progbits
; Kernel info:
; codeLenInByte = 1664
; TotalNumSgprs: 20
; NumVgprs: 34
; ScratchSize: 0
; MemoryBound: 1
; FloatMode: 240
; IeeeMode: 1
; LDSByteSize: 1352 bytes/workgroup (compile time only)
; SGPRBlocks: 2
; VGPRBlocks: 8
; NumSGPRsForWavesPerEU: 20
; NumVGPRsForWavesPerEU: 34
; Occupancy: 7
; WaveLimiterHint : 1
; COMPUTE_PGM_RSRC2:SCRATCH_EN: 0
; COMPUTE_PGM_RSRC2:USER_SGPR: 6
; COMPUTE_PGM_RSRC2:TRAP_HANDLER: 0
; COMPUTE_PGM_RSRC2:TGID_X_EN: 1
; COMPUTE_PGM_RSRC2:TGID_Y_EN: 0
; COMPUTE_PGM_RSRC2:TGID_Z_EN: 0
; COMPUTE_PGM_RSRC2:TIDIG_COMP_CNT: 0
	.section	.text._ZN9rocsparseL35gtsv_nopivot_pcr_pow2_shared_kernelILj64EdEEviiiPKT0_S3_S3_PS1_,"axG",@progbits,_ZN9rocsparseL35gtsv_nopivot_pcr_pow2_shared_kernelILj64EdEEviiiPKT0_S3_S3_PS1_,comdat
	.globl	_ZN9rocsparseL35gtsv_nopivot_pcr_pow2_shared_kernelILj64EdEEviiiPKT0_S3_S3_PS1_ ; -- Begin function _ZN9rocsparseL35gtsv_nopivot_pcr_pow2_shared_kernelILj64EdEEviiiPKT0_S3_S3_PS1_
	.p2align	8
	.type	_ZN9rocsparseL35gtsv_nopivot_pcr_pow2_shared_kernelILj64EdEEviiiPKT0_S3_S3_PS1_,@function
_ZN9rocsparseL35gtsv_nopivot_pcr_pow2_shared_kernelILj64EdEEviiiPKT0_S3_S3_PS1_: ; @_ZN9rocsparseL35gtsv_nopivot_pcr_pow2_shared_kernelILj64EdEEviiiPKT0_S3_S3_PS1_
; %bb.0:
	s_load_dwordx8 s[8:15], s[4:5], 0x10
	s_load_dword s0, s[4:5], 0x8
	v_mov_b32_e32 v2, 0
	v_lshlrev_b32_e32 v3, 3, v0
	v_sub_u32_e64 v12, v0, 1 clamp
	s_waitcnt lgkmcnt(0)
	v_mov_b32_e32 v10, s15
	s_mul_i32 s0, s0, s6
	v_add_u32_e32 v1, s0, v0
	v_lshlrev_b64 v[1:2], 3, v[1:2]
	global_load_dwordx2 v[4:5], v3, s[8:9]
	global_load_dwordx2 v[6:7], v3, s[10:11]
	;; [unrolled: 1-line block ×3, first 2 shown]
	v_add_co_u32_e32 v1, vcc, s14, v1
	v_addc_co_u32_e32 v2, vcc, v10, v2, vcc
	global_load_dwordx2 v[10:11], v[1:2], off
	v_add_u32_e32 v34, 0x400, v3
	v_lshlrev_b32_e32 v35, 3, v12
	v_min_u32_e32 v12, 62, v0
	v_lshlrev_b32_e32 v36, 3, v12
	s_waitcnt vmcnt(2)
	ds_write2_b64 v3, v[4:5], v[6:7] offset1:66
	s_waitcnt vmcnt(0)
	ds_write2_b64 v34, v[8:9], v[10:11] offset0:4 offset1:136
	s_waitcnt lgkmcnt(0)
	; wave barrier
	ds_read2_b64 v[4:7], v3 offset1:66
	ds_read2_b64 v[8:11], v35 offset1:66
	ds_read2_b64 v[12:15], v34 offset0:4 offset1:136
	ds_read2_b64 v[16:19], v36 offset0:1 offset1:67
	s_waitcnt lgkmcnt(2)
	v_div_scale_f64 v[20:21], s[0:1], v[10:11], v[10:11], v[4:5]
	s_waitcnt lgkmcnt(0)
	v_div_scale_f64 v[22:23], s[0:1], v[18:19], v[18:19], v[12:13]
	v_rcp_f64_e32 v[24:25], v[20:21]
	v_rcp_f64_e32 v[26:27], v[22:23]
	v_fma_f64 v[28:29], -v[20:21], v[24:25], 1.0
	v_fma_f64 v[30:31], -v[22:23], v[26:27], 1.0
	v_fma_f64 v[24:25], v[24:25], v[28:29], v[24:25]
	v_fma_f64 v[26:27], v[26:27], v[30:31], v[26:27]
	v_div_scale_f64 v[30:31], vcc, v[4:5], v[10:11], v[4:5]
	v_fma_f64 v[28:29], -v[20:21], v[24:25], 1.0
	v_fma_f64 v[24:25], v[24:25], v[28:29], v[24:25]
	v_fma_f64 v[28:29], -v[22:23], v[26:27], 1.0
	v_fma_f64 v[26:27], v[26:27], v[28:29], v[26:27]
	v_mul_f64 v[28:29], v[30:31], v[24:25]
	v_fma_f64 v[20:21], -v[20:21], v[28:29], v[30:31]
	v_div_scale_f64 v[30:31], s[0:1], v[12:13], v[18:19], v[12:13]
	v_div_fmas_f64 v[20:21], v[20:21], v[24:25], v[28:29]
	s_mov_b64 vcc, s[0:1]
	v_mul_f64 v[32:33], v[30:31], v[26:27]
	v_div_fixup_f64 v[10:11], v[20:21], v[10:11], v[4:5]
	v_fma_f64 v[22:23], -v[22:23], v[32:33], v[30:31]
	v_add_u32_e32 v4, 0x400, v35
	v_mul_f64 v[8:9], v[10:11], -v[8:9]
	v_div_fmas_f64 v[24:25], v[22:23], v[26:27], v[32:33]
	ds_read2_b64 v[20:23], v4 offset0:4 offset1:136
	v_add_u32_e32 v4, 0x400, v36
	s_waitcnt lgkmcnt(0)
	v_fma_f64 v[14:15], -v[10:11], v[22:23], v[14:15]
	v_div_fixup_f64 v[12:13], v[24:25], v[18:19], v[12:13]
	v_fma_f64 v[18:19], -v[10:11], v[20:21], v[6:7]
	ds_read2_b64 v[4:7], v4 offset0:5 offset1:137
	s_waitcnt lgkmcnt(0)
	; wave barrier
	v_mul_f64 v[4:5], v[12:13], -v[4:5]
	v_fma_f64 v[10:11], -v[12:13], v[16:17], v[18:19]
	v_fma_f64 v[6:7], -v[12:13], v[6:7], v[14:15]
	v_sub_u32_e64 v12, v0, 2 clamp
	v_lshlrev_b32_e32 v35, 3, v12
	ds_write2_b64 v3, v[8:9], v[10:11] offset1:66
	ds_write2_b64 v34, v[4:5], v[6:7] offset0:4 offset1:136
	s_waitcnt lgkmcnt(0)
	; wave barrier
	ds_read2_b64 v[4:7], v3 offset1:66
	ds_read2_b64 v[8:11], v35 offset1:66
	v_min_u32_e32 v12, 61, v0
	v_lshlrev_b32_e32 v36, 3, v12
	ds_read2_b64 v[12:15], v34 offset0:4 offset1:136
	ds_read2_b64 v[16:19], v36 offset0:2 offset1:68
	s_waitcnt lgkmcnt(2)
	v_div_scale_f64 v[20:21], s[0:1], v[10:11], v[10:11], v[4:5]
	s_waitcnt lgkmcnt(0)
	v_div_scale_f64 v[22:23], s[0:1], v[18:19], v[18:19], v[12:13]
	v_rcp_f64_e32 v[24:25], v[20:21]
	v_rcp_f64_e32 v[26:27], v[22:23]
	v_fma_f64 v[28:29], -v[20:21], v[24:25], 1.0
	v_fma_f64 v[30:31], -v[22:23], v[26:27], 1.0
	v_fma_f64 v[24:25], v[24:25], v[28:29], v[24:25]
	v_fma_f64 v[26:27], v[26:27], v[30:31], v[26:27]
	v_div_scale_f64 v[30:31], vcc, v[4:5], v[10:11], v[4:5]
	v_fma_f64 v[28:29], -v[20:21], v[24:25], 1.0
	v_fma_f64 v[24:25], v[24:25], v[28:29], v[24:25]
	v_fma_f64 v[28:29], -v[22:23], v[26:27], 1.0
	v_fma_f64 v[26:27], v[26:27], v[28:29], v[26:27]
	v_mul_f64 v[28:29], v[30:31], v[24:25]
	v_fma_f64 v[20:21], -v[20:21], v[28:29], v[30:31]
	v_div_scale_f64 v[30:31], s[0:1], v[12:13], v[18:19], v[12:13]
	v_div_fmas_f64 v[20:21], v[20:21], v[24:25], v[28:29]
	s_mov_b64 vcc, s[0:1]
	v_mul_f64 v[32:33], v[30:31], v[26:27]
	v_div_fixup_f64 v[10:11], v[20:21], v[10:11], v[4:5]
	v_fma_f64 v[22:23], -v[22:23], v[32:33], v[30:31]
	v_add_u32_e32 v4, 0x400, v35
	v_mul_f64 v[8:9], v[10:11], -v[8:9]
	v_div_fmas_f64 v[24:25], v[22:23], v[26:27], v[32:33]
	ds_read2_b64 v[20:23], v4 offset0:4 offset1:136
	v_add_u32_e32 v4, 0x400, v36
	s_waitcnt lgkmcnt(0)
	v_fma_f64 v[14:15], -v[10:11], v[22:23], v[14:15]
	v_div_fixup_f64 v[12:13], v[24:25], v[18:19], v[12:13]
	v_fma_f64 v[18:19], -v[10:11], v[20:21], v[6:7]
	ds_read2_b64 v[4:7], v4 offset0:6 offset1:138
	s_waitcnt lgkmcnt(0)
	; wave barrier
	v_mul_f64 v[4:5], v[12:13], -v[4:5]
	v_fma_f64 v[10:11], -v[12:13], v[16:17], v[18:19]
	v_fma_f64 v[6:7], -v[12:13], v[6:7], v[14:15]
	v_sub_u32_e64 v12, v0, 4 clamp
	v_lshlrev_b32_e32 v35, 3, v12
	ds_write2_b64 v3, v[8:9], v[10:11] offset1:66
	ds_write2_b64 v34, v[4:5], v[6:7] offset0:4 offset1:136
	s_waitcnt lgkmcnt(0)
	; wave barrier
	ds_read2_b64 v[4:7], v3 offset1:66
	ds_read2_b64 v[8:11], v35 offset1:66
	v_min_u32_e32 v12, 59, v0
	v_lshlrev_b32_e32 v36, 3, v12
	;; [unrolled: 50-line block ×4, first 2 shown]
	ds_read2_b64 v[12:15], v34 offset0:4 offset1:136
	ds_read2_b64 v[16:19], v36 offset0:16 offset1:82
	s_waitcnt lgkmcnt(2)
	v_div_scale_f64 v[20:21], s[0:1], v[10:11], v[10:11], v[4:5]
	s_waitcnt lgkmcnt(0)
	v_div_scale_f64 v[22:23], s[0:1], v[18:19], v[18:19], v[12:13]
	v_rcp_f64_e32 v[24:25], v[20:21]
	v_rcp_f64_e32 v[26:27], v[22:23]
	v_fma_f64 v[28:29], -v[20:21], v[24:25], 1.0
	v_fma_f64 v[30:31], -v[22:23], v[26:27], 1.0
	v_fma_f64 v[24:25], v[24:25], v[28:29], v[24:25]
	v_fma_f64 v[26:27], v[26:27], v[30:31], v[26:27]
	v_div_scale_f64 v[30:31], vcc, v[4:5], v[10:11], v[4:5]
	v_fma_f64 v[28:29], -v[20:21], v[24:25], 1.0
	v_fma_f64 v[24:25], v[24:25], v[28:29], v[24:25]
	v_fma_f64 v[28:29], -v[22:23], v[26:27], 1.0
	v_fma_f64 v[26:27], v[26:27], v[28:29], v[26:27]
	v_mul_f64 v[28:29], v[30:31], v[24:25]
	v_fma_f64 v[20:21], -v[20:21], v[28:29], v[30:31]
	v_div_scale_f64 v[30:31], s[0:1], v[12:13], v[18:19], v[12:13]
	v_div_fmas_f64 v[20:21], v[20:21], v[24:25], v[28:29]
	s_mov_b64 vcc, s[0:1]
	v_mul_f64 v[32:33], v[30:31], v[26:27]
	v_div_fixup_f64 v[10:11], v[20:21], v[10:11], v[4:5]
	v_fma_f64 v[22:23], -v[22:23], v[32:33], v[30:31]
	v_add_u32_e32 v4, 0x400, v35
	v_mul_f64 v[8:9], v[10:11], -v[8:9]
	v_div_fmas_f64 v[24:25], v[22:23], v[26:27], v[32:33]
	ds_read2_b64 v[20:23], v4 offset0:4 offset1:136
	v_add_u32_e32 v4, 0x400, v36
	v_cmp_gt_u32_e32 vcc, 32, v0
	s_waitcnt lgkmcnt(0)
	v_fma_f64 v[14:15], -v[10:11], v[22:23], v[14:15]
	v_div_fixup_f64 v[12:13], v[24:25], v[18:19], v[12:13]
	v_fma_f64 v[18:19], -v[10:11], v[20:21], v[6:7]
	ds_read2_b64 v[4:7], v4 offset0:20 offset1:152
	s_waitcnt lgkmcnt(0)
	; wave barrier
	v_mul_f64 v[4:5], v[12:13], -v[4:5]
	v_fma_f64 v[10:11], -v[12:13], v[16:17], v[18:19]
	v_fma_f64 v[6:7], -v[12:13], v[6:7], v[14:15]
	ds_write2_b64 v3, v[8:9], v[10:11] offset1:66
	ds_write2_b64 v34, v[4:5], v[6:7] offset0:4 offset1:136
	s_waitcnt lgkmcnt(0)
	; wave barrier
	s_and_saveexec_b64 s[0:1], vcc
	s_cbranch_execz .LBB30_2
; %bb.1:
	v_add_u32_e32 v0, 0x420, v3
	ds_read_b64 v[12:13], v0
	ds_read_b64 v[14:15], v3 offset:256
	v_add_u32_e32 v0, 0x210, v3
	ds_read2_b64 v[4:7], v0 offset1:32
	v_add_u32_e32 v0, 0x840, v3
	s_waitcnt lgkmcnt(1)
	v_mul_f64 v[8:9], v[12:13], v[14:15]
	s_waitcnt lgkmcnt(0)
	v_fma_f64 v[16:17], v[6:7], v[4:5], -v[8:9]
	v_div_scale_f64 v[8:9], s[2:3], v[16:17], v[16:17], 1.0
	v_rcp_f64_e32 v[10:11], v[8:9]
	v_fma_f64 v[18:19], -v[8:9], v[10:11], 1.0
	v_fma_f64 v[10:11], v[10:11], v[18:19], v[10:11]
	v_div_scale_f64 v[18:19], vcc, 1.0, v[16:17], 1.0
	v_fma_f64 v[20:21], -v[8:9], v[10:11], 1.0
	v_fma_f64 v[10:11], v[10:11], v[20:21], v[10:11]
	v_mul_f64 v[20:21], v[18:19], v[10:11]
	v_fma_f64 v[8:9], -v[8:9], v[20:21], v[18:19]
	v_div_fmas_f64 v[18:19], v[8:9], v[10:11], v[20:21]
	ds_read2_b64 v[8:11], v0 offset1:32
	s_waitcnt lgkmcnt(0)
	v_mul_f64 v[12:13], v[12:13], v[10:11]
	v_mul_f64 v[14:15], v[14:15], v[8:9]
	v_fma_f64 v[6:7], v[6:7], v[8:9], -v[12:13]
	v_fma_f64 v[4:5], v[4:5], v[10:11], -v[14:15]
	v_div_fixup_f64 v[8:9], v[18:19], v[16:17], 1.0
	v_mul_f64 v[6:7], v[8:9], v[6:7]
	v_mul_f64 v[4:5], v[8:9], v[4:5]
	ds_write2_b64 v3, v[6:7], v[4:5] offset0:198 offset1:230
.LBB30_2:
	s_or_b64 exec, exec, s[0:1]
	s_waitcnt lgkmcnt(0)
	; wave barrier
	ds_read_b64 v[3:4], v3 offset:1584
	s_waitcnt lgkmcnt(0)
	global_store_dwordx2 v[1:2], v[3:4], off
	s_endpgm
	.section	.rodata,"a",@progbits
	.p2align	6, 0x0
	.amdhsa_kernel _ZN9rocsparseL35gtsv_nopivot_pcr_pow2_shared_kernelILj64EdEEviiiPKT0_S3_S3_PS1_
		.amdhsa_group_segment_fixed_size 2632
		.amdhsa_private_segment_fixed_size 0
		.amdhsa_kernarg_size 48
		.amdhsa_user_sgpr_count 6
		.amdhsa_user_sgpr_private_segment_buffer 1
		.amdhsa_user_sgpr_dispatch_ptr 0
		.amdhsa_user_sgpr_queue_ptr 0
		.amdhsa_user_sgpr_kernarg_segment_ptr 1
		.amdhsa_user_sgpr_dispatch_id 0
		.amdhsa_user_sgpr_flat_scratch_init 0
		.amdhsa_user_sgpr_private_segment_size 0
		.amdhsa_uses_dynamic_stack 0
		.amdhsa_system_sgpr_private_segment_wavefront_offset 0
		.amdhsa_system_sgpr_workgroup_id_x 1
		.amdhsa_system_sgpr_workgroup_id_y 0
		.amdhsa_system_sgpr_workgroup_id_z 0
		.amdhsa_system_sgpr_workgroup_info 0
		.amdhsa_system_vgpr_workitem_id 0
		.amdhsa_next_free_vgpr 37
		.amdhsa_next_free_sgpr 93
		.amdhsa_reserve_vcc 1
		.amdhsa_reserve_flat_scratch 0
		.amdhsa_float_round_mode_32 0
		.amdhsa_float_round_mode_16_64 0
		.amdhsa_float_denorm_mode_32 3
		.amdhsa_float_denorm_mode_16_64 3
		.amdhsa_dx10_clamp 1
		.amdhsa_ieee_mode 1
		.amdhsa_fp16_overflow 0
		.amdhsa_exception_fp_ieee_invalid_op 0
		.amdhsa_exception_fp_denorm_src 0
		.amdhsa_exception_fp_ieee_div_zero 0
		.amdhsa_exception_fp_ieee_overflow 0
		.amdhsa_exception_fp_ieee_underflow 0
		.amdhsa_exception_fp_ieee_inexact 0
		.amdhsa_exception_int_div_zero 0
	.end_amdhsa_kernel
	.section	.text._ZN9rocsparseL35gtsv_nopivot_pcr_pow2_shared_kernelILj64EdEEviiiPKT0_S3_S3_PS1_,"axG",@progbits,_ZN9rocsparseL35gtsv_nopivot_pcr_pow2_shared_kernelILj64EdEEviiiPKT0_S3_S3_PS1_,comdat
.Lfunc_end30:
	.size	_ZN9rocsparseL35gtsv_nopivot_pcr_pow2_shared_kernelILj64EdEEviiiPKT0_S3_S3_PS1_, .Lfunc_end30-_ZN9rocsparseL35gtsv_nopivot_pcr_pow2_shared_kernelILj64EdEEviiiPKT0_S3_S3_PS1_
                                        ; -- End function
	.set _ZN9rocsparseL35gtsv_nopivot_pcr_pow2_shared_kernelILj64EdEEviiiPKT0_S3_S3_PS1_.num_vgpr, 37
	.set _ZN9rocsparseL35gtsv_nopivot_pcr_pow2_shared_kernelILj64EdEEviiiPKT0_S3_S3_PS1_.num_agpr, 0
	.set _ZN9rocsparseL35gtsv_nopivot_pcr_pow2_shared_kernelILj64EdEEviiiPKT0_S3_S3_PS1_.numbered_sgpr, 16
	.set _ZN9rocsparseL35gtsv_nopivot_pcr_pow2_shared_kernelILj64EdEEviiiPKT0_S3_S3_PS1_.num_named_barrier, 0
	.set _ZN9rocsparseL35gtsv_nopivot_pcr_pow2_shared_kernelILj64EdEEviiiPKT0_S3_S3_PS1_.private_seg_size, 0
	.set _ZN9rocsparseL35gtsv_nopivot_pcr_pow2_shared_kernelILj64EdEEviiiPKT0_S3_S3_PS1_.uses_vcc, 1
	.set _ZN9rocsparseL35gtsv_nopivot_pcr_pow2_shared_kernelILj64EdEEviiiPKT0_S3_S3_PS1_.uses_flat_scratch, 0
	.set _ZN9rocsparseL35gtsv_nopivot_pcr_pow2_shared_kernelILj64EdEEviiiPKT0_S3_S3_PS1_.has_dyn_sized_stack, 0
	.set _ZN9rocsparseL35gtsv_nopivot_pcr_pow2_shared_kernelILj64EdEEviiiPKT0_S3_S3_PS1_.has_recursion, 0
	.set _ZN9rocsparseL35gtsv_nopivot_pcr_pow2_shared_kernelILj64EdEEviiiPKT0_S3_S3_PS1_.has_indirect_call, 0
	.section	.AMDGPU.csdata,"",@progbits
; Kernel info:
; codeLenInByte = 2092
; TotalNumSgprs: 20
; NumVgprs: 37
; ScratchSize: 0
; MemoryBound: 1
; FloatMode: 240
; IeeeMode: 1
; LDSByteSize: 2632 bytes/workgroup (compile time only)
; SGPRBlocks: 12
; VGPRBlocks: 9
; NumSGPRsForWavesPerEU: 97
; NumVGPRsForWavesPerEU: 37
; Occupancy: 6
; WaveLimiterHint : 1
; COMPUTE_PGM_RSRC2:SCRATCH_EN: 0
; COMPUTE_PGM_RSRC2:USER_SGPR: 6
; COMPUTE_PGM_RSRC2:TRAP_HANDLER: 0
; COMPUTE_PGM_RSRC2:TGID_X_EN: 1
; COMPUTE_PGM_RSRC2:TGID_Y_EN: 0
; COMPUTE_PGM_RSRC2:TGID_Z_EN: 0
; COMPUTE_PGM_RSRC2:TIDIG_COMP_CNT: 0
	.section	.text._ZN9rocsparseL37gtsv_nopivot_crpcr_pow2_shared_kernelILj64ELj64EdEEviiiPKT1_S3_S3_PS1_,"axG",@progbits,_ZN9rocsparseL37gtsv_nopivot_crpcr_pow2_shared_kernelILj64ELj64EdEEviiiPKT1_S3_S3_PS1_,comdat
	.globl	_ZN9rocsparseL37gtsv_nopivot_crpcr_pow2_shared_kernelILj64ELj64EdEEviiiPKT1_S3_S3_PS1_ ; -- Begin function _ZN9rocsparseL37gtsv_nopivot_crpcr_pow2_shared_kernelILj64ELj64EdEEviiiPKT1_S3_S3_PS1_
	.p2align	8
	.type	_ZN9rocsparseL37gtsv_nopivot_crpcr_pow2_shared_kernelILj64ELj64EdEEviiiPKT1_S3_S3_PS1_,@function
_ZN9rocsparseL37gtsv_nopivot_crpcr_pow2_shared_kernelILj64ELj64EdEEviiiPKT1_S3_S3_PS1_: ; @_ZN9rocsparseL37gtsv_nopivot_crpcr_pow2_shared_kernelILj64ELj64EdEEviiiPKT1_S3_S3_PS1_
; %bb.0:
	s_load_dwordx8 s[8:15], s[4:5], 0x10
	s_load_dword s0, s[4:5], 0x8
	v_mov_b32_e32 v4, 0
	v_lshlrev_b32_e32 v7, 3, v0
	s_waitcnt lgkmcnt(0)
	global_load_dwordx2 v[5:6], v7, s[8:9]
	global_load_dwordx2 v[8:9], v7, s[8:9] offset:512
	global_load_dwordx2 v[10:11], v7, s[10:11]
	global_load_dwordx2 v[12:13], v7, s[12:13]
	global_load_dwordx2 v[14:15], v7, s[10:11] offset:512
	global_load_dwordx2 v[16:17], v7, s[12:13] offset:512
	s_mul_i32 s0, s0, s6
	v_add_u32_e32 v3, s0, v0
	v_lshlrev_b64 v[1:2], 3, v[3:4]
	v_add_u32_e32 v3, 64, v3
	v_mov_b32_e32 v18, s15
	v_add_co_u32_e32 v1, vcc, s14, v1
	v_lshlrev_b64 v[3:4], 3, v[3:4]
	v_addc_co_u32_e32 v2, vcc, v18, v2, vcc
	v_add_co_u32_e32 v3, vcc, s14, v3
	v_addc_co_u32_e32 v4, vcc, v18, v4, vcc
	global_load_dwordx2 v[18:19], v[1:2], off
	global_load_dwordx2 v[20:21], v[3:4], off
	v_cmp_gt_u32_e64 s[0:1], 64, v0
	v_cmp_lt_u32_e32 vcc, 63, v0
	s_waitcnt vmcnt(6)
	ds_write2st64_b64 v7, v[5:6], v[8:9] offset1:1
	s_waitcnt vmcnt(3)
	ds_write2st64_b64 v7, v[10:11], v[14:15] offset0:2 offset1:3
	s_waitcnt vmcnt(2)
	ds_write2st64_b64 v7, v[12:13], v[16:17] offset0:4 offset1:5
	;; [unrolled: 2-line block ×3, first 2 shown]
	s_waitcnt lgkmcnt(0)
	; wave barrier
	s_and_saveexec_b64 s[2:3], vcc
	s_xor_b64 s[2:3], exec, s[2:3]
	s_or_saveexec_b64 s[4:5], s[2:3]
	v_or_b32_e32 v6, 0x800, v7
	v_or_b32_e32 v5, 0x1000, v7
	v_lshlrev_b32_e32 v8, 1, v0
	s_xor_b64 exec, exec, s[4:5]
	s_cbranch_execz .LBB31_2
; %bb.1:
	v_or_b32_e32 v9, 0x400, v7
	v_add_u32_e32 v45, v7, v7
	v_add_u32_e32 v46, v9, v7
	ds_read_b128 v[9:12], v45
	ds_read_b128 v[13:16], v46
	v_min_u32_e32 v21, 0x7d, v8
	v_add_u32_e32 v47, v6, v7
	v_lshlrev_b32_e32 v48, 3, v21
	ds_read_b128 v[17:20], v47
	s_waitcnt lgkmcnt(1)
	v_div_scale_f64 v[29:30], s[2:3], v[13:14], v[13:14], v[11:12]
	ds_read2_b64 v[21:24], v48 offset0:2 offset1:130
	v_add_u32_e32 v49, v5, v7
	ds_read_b128 v[25:28], v49
	s_waitcnt lgkmcnt(1)
	v_div_scale_f64 v[31:32], s[2:3], v[23:24], v[23:24], v[19:20]
	v_div_scale_f64 v[41:42], s[2:3], v[19:20], v[23:24], v[19:20]
	v_rcp_f64_e32 v[33:34], v[29:30]
	v_rcp_f64_e32 v[35:36], v[31:32]
	v_fma_f64 v[37:38], -v[29:30], v[33:34], 1.0
	v_fma_f64 v[39:40], -v[31:32], v[35:36], 1.0
	v_fma_f64 v[33:34], v[33:34], v[37:38], v[33:34]
	v_div_scale_f64 v[37:38], vcc, v[11:12], v[13:14], v[11:12]
	v_fma_f64 v[35:36], v[35:36], v[39:40], v[35:36]
	v_fma_f64 v[39:40], -v[29:30], v[33:34], 1.0
	v_fma_f64 v[43:44], -v[31:32], v[35:36], 1.0
	v_fma_f64 v[33:34], v[33:34], v[39:40], v[33:34]
	v_fma_f64 v[35:36], v[35:36], v[43:44], v[35:36]
	v_mul_f64 v[39:40], v[37:38], v[33:34]
	v_mul_f64 v[43:44], v[41:42], v[35:36]
	v_fma_f64 v[29:30], -v[29:30], v[39:40], v[37:38]
	v_fma_f64 v[31:32], -v[31:32], v[43:44], v[41:42]
	v_div_fmas_f64 v[29:30], v[29:30], v[33:34], v[39:40]
	s_mov_b64 vcc, s[2:3]
	v_div_fmas_f64 v[31:32], v[31:32], v[35:36], v[43:44]
	v_div_fixup_f64 v[29:30], v[29:30], v[13:14], v[11:12]
	v_add_u32_e32 v11, 16, v48
	ds_read2st64_b64 v[11:14], v11 offset0:4 offset1:8
	v_div_fixup_f64 v[19:20], v[31:32], v[23:24], v[19:20]
	v_fma_f64 v[15:16], -v[29:30], v[17:18], v[15:16]
	s_waitcnt lgkmcnt(1)
	v_fma_f64 v[17:18], -v[29:30], v[25:26], v[27:28]
	v_mul_f64 v[9:10], v[29:30], -v[9:10]
	s_waitcnt lgkmcnt(0)
	v_mul_f64 v[11:12], v[19:20], -v[11:12]
	v_fma_f64 v[15:16], -v[19:20], v[21:22], v[15:16]
	v_fma_f64 v[13:14], -v[19:20], v[13:14], v[17:18]
	ds_write_b64 v45, v[9:10] offset:8
	ds_write_b64 v46, v[15:16] offset:8
	;; [unrolled: 1-line block ×4, first 2 shown]
.LBB31_2:
	s_or_b64 exec, exec, s[4:5]
	v_lshlrev_b32_e32 v8, 3, v8
	v_add_u32_e32 v6, v6, v7
	s_waitcnt lgkmcnt(0)
	; wave barrier
	ds_read2_b64 v[9:12], v8 offset0:1 offset1:129
	v_add_u32_e32 v5, v5, v7
	ds_read_b64 v[13:14], v6 offset:8
	ds_read_b64 v[15:16], v5 offset:8
	v_sub_u32_e64 v6, v0, 1 clamp
	v_lshlrev_b32_e32 v5, 3, v0
	v_lshlrev_b32_e32 v6, 3, v6
	s_waitcnt lgkmcnt(2)
	ds_write2st64_b64 v5, v[9:10], v[11:12] offset0:10 offset1:11
	s_waitcnt lgkmcnt(1)
	ds_write2st64_b64 v5, v[13:14], v[15:16] offset0:12 offset1:14
	s_waitcnt lgkmcnt(0)
	; wave barrier
	ds_read2st64_b64 v[9:12], v5 offset0:10 offset1:11
	ds_read2st64_b64 v[13:16], v6 offset0:10 offset1:11
	v_min_u32_e32 v21, 62, v0
	v_lshlrev_b32_e32 v21, 3, v21
	v_add_u32_e32 v41, 8, v21
	ds_read2st64_b64 v[17:20], v5 offset0:12 offset1:14
	s_waitcnt lgkmcnt(1)
	v_div_scale_f64 v[25:26], s[2:3], v[15:16], v[15:16], v[9:10]
	ds_read2st64_b64 v[21:24], v41 offset0:10 offset1:11
	s_waitcnt lgkmcnt(0)
	v_div_scale_f64 v[27:28], s[2:3], v[23:24], v[23:24], v[17:18]
	v_div_scale_f64 v[37:38], s[2:3], v[17:18], v[23:24], v[17:18]
	v_rcp_f64_e32 v[29:30], v[25:26]
	v_rcp_f64_e32 v[31:32], v[27:28]
	v_fma_f64 v[33:34], -v[25:26], v[29:30], 1.0
	v_fma_f64 v[35:36], -v[27:28], v[31:32], 1.0
	v_fma_f64 v[29:30], v[29:30], v[33:34], v[29:30]
	v_div_scale_f64 v[33:34], vcc, v[9:10], v[15:16], v[9:10]
	v_fma_f64 v[31:32], v[31:32], v[35:36], v[31:32]
	v_fma_f64 v[35:36], -v[25:26], v[29:30], 1.0
	v_fma_f64 v[39:40], -v[27:28], v[31:32], 1.0
	v_fma_f64 v[29:30], v[29:30], v[35:36], v[29:30]
	v_fma_f64 v[31:32], v[31:32], v[39:40], v[31:32]
	v_mul_f64 v[35:36], v[33:34], v[29:30]
	v_mul_f64 v[39:40], v[37:38], v[31:32]
	v_fma_f64 v[25:26], -v[25:26], v[35:36], v[33:34]
	v_fma_f64 v[27:28], -v[27:28], v[39:40], v[37:38]
	v_div_fmas_f64 v[25:26], v[25:26], v[29:30], v[35:36]
	s_mov_b64 vcc, s[2:3]
	v_div_fmas_f64 v[29:30], v[27:28], v[31:32], v[39:40]
	v_div_fixup_f64 v[15:16], v[25:26], v[15:16], v[9:10]
	ds_read2st64_b64 v[25:28], v6 offset0:12 offset1:14
	v_min_u32_e32 v6, 61, v0
	v_lshlrev_b32_e32 v6, 3, v6
	v_add_u32_e32 v6, 16, v6
	v_div_fixup_f64 v[17:18], v[29:30], v[23:24], v[17:18]
	s_waitcnt lgkmcnt(0)
	v_fma_f64 v[23:24], -v[15:16], v[25:26], v[11:12]
	v_fma_f64 v[19:20], -v[15:16], v[27:28], v[19:20]
	ds_read2st64_b64 v[9:12], v41 offset0:12 offset1:14
	v_mul_f64 v[13:14], v[15:16], -v[13:14]
	s_waitcnt lgkmcnt(0)
	; wave barrier
	v_mul_f64 v[9:10], v[17:18], -v[9:10]
	v_fma_f64 v[15:16], -v[17:18], v[21:22], v[23:24]
	v_fma_f64 v[11:12], -v[17:18], v[11:12], v[19:20]
	v_sub_u32_e64 v17, v0, 2 clamp
	v_lshlrev_b32_e32 v41, 3, v17
	ds_write2st64_b64 v5, v[13:14], v[15:16] offset0:10 offset1:11
	ds_write2st64_b64 v5, v[9:10], v[11:12] offset0:12 offset1:14
	s_waitcnt lgkmcnt(0)
	; wave barrier
	ds_read2st64_b64 v[9:12], v5 offset0:10 offset1:11
	ds_read2st64_b64 v[13:16], v41 offset0:10 offset1:11
	;; [unrolled: 1-line block ×4, first 2 shown]
	s_waitcnt lgkmcnt(2)
	v_div_scale_f64 v[25:26], s[2:3], v[15:16], v[15:16], v[9:10]
	s_waitcnt lgkmcnt(0)
	v_div_scale_f64 v[27:28], s[2:3], v[23:24], v[23:24], v[17:18]
	v_div_scale_f64 v[37:38], s[2:3], v[17:18], v[23:24], v[17:18]
	v_rcp_f64_e32 v[29:30], v[25:26]
	v_rcp_f64_e32 v[31:32], v[27:28]
	v_fma_f64 v[33:34], -v[25:26], v[29:30], 1.0
	v_fma_f64 v[35:36], -v[27:28], v[31:32], 1.0
	v_fma_f64 v[29:30], v[29:30], v[33:34], v[29:30]
	v_div_scale_f64 v[33:34], vcc, v[9:10], v[15:16], v[9:10]
	v_fma_f64 v[31:32], v[31:32], v[35:36], v[31:32]
	v_fma_f64 v[35:36], -v[25:26], v[29:30], 1.0
	v_fma_f64 v[39:40], -v[27:28], v[31:32], 1.0
	v_fma_f64 v[29:30], v[29:30], v[35:36], v[29:30]
	v_fma_f64 v[31:32], v[31:32], v[39:40], v[31:32]
	v_mul_f64 v[35:36], v[33:34], v[29:30]
	v_mul_f64 v[39:40], v[37:38], v[31:32]
	v_fma_f64 v[25:26], -v[25:26], v[35:36], v[33:34]
	v_fma_f64 v[27:28], -v[27:28], v[39:40], v[37:38]
	v_div_fmas_f64 v[25:26], v[25:26], v[29:30], v[35:36]
	s_mov_b64 vcc, s[2:3]
	v_div_fmas_f64 v[29:30], v[27:28], v[31:32], v[39:40]
	v_div_fixup_f64 v[15:16], v[25:26], v[15:16], v[9:10]
	ds_read2st64_b64 v[25:28], v41 offset0:12 offset1:14
	v_div_fixup_f64 v[17:18], v[29:30], v[23:24], v[17:18]
	s_waitcnt lgkmcnt(0)
	v_fma_f64 v[23:24], -v[15:16], v[25:26], v[11:12]
	v_fma_f64 v[19:20], -v[15:16], v[27:28], v[19:20]
	ds_read2st64_b64 v[9:12], v6 offset0:12 offset1:14
	v_mul_f64 v[13:14], v[15:16], -v[13:14]
	s_waitcnt lgkmcnt(0)
	; wave barrier
	v_min_u32_e32 v6, 59, v0
	v_mul_f64 v[9:10], v[17:18], -v[9:10]
	v_fma_f64 v[15:16], -v[17:18], v[21:22], v[23:24]
	v_fma_f64 v[11:12], -v[17:18], v[11:12], v[19:20]
	v_sub_u32_e64 v17, v0, 4 clamp
	v_lshlrev_b32_e32 v41, 3, v17
	ds_write2st64_b64 v5, v[13:14], v[15:16] offset0:10 offset1:11
	ds_write2st64_b64 v5, v[9:10], v[11:12] offset0:12 offset1:14
	s_waitcnt lgkmcnt(0)
	; wave barrier
	ds_read2st64_b64 v[9:12], v5 offset0:10 offset1:11
	ds_read2st64_b64 v[13:16], v41 offset0:10 offset1:11
	v_lshlrev_b32_e32 v6, 3, v6
	v_add_u32_e32 v6, 32, v6
	ds_read2st64_b64 v[17:20], v5 offset0:12 offset1:14
	ds_read2st64_b64 v[21:24], v6 offset0:10 offset1:11
	s_waitcnt lgkmcnt(2)
	v_div_scale_f64 v[25:26], s[2:3], v[15:16], v[15:16], v[9:10]
	s_waitcnt lgkmcnt(0)
	v_div_scale_f64 v[27:28], s[2:3], v[23:24], v[23:24], v[17:18]
	v_div_scale_f64 v[37:38], s[2:3], v[17:18], v[23:24], v[17:18]
	v_rcp_f64_e32 v[29:30], v[25:26]
	v_rcp_f64_e32 v[31:32], v[27:28]
	v_fma_f64 v[33:34], -v[25:26], v[29:30], 1.0
	v_fma_f64 v[35:36], -v[27:28], v[31:32], 1.0
	v_fma_f64 v[29:30], v[29:30], v[33:34], v[29:30]
	v_div_scale_f64 v[33:34], vcc, v[9:10], v[15:16], v[9:10]
	v_fma_f64 v[31:32], v[31:32], v[35:36], v[31:32]
	v_fma_f64 v[35:36], -v[25:26], v[29:30], 1.0
	v_fma_f64 v[39:40], -v[27:28], v[31:32], 1.0
	v_fma_f64 v[29:30], v[29:30], v[35:36], v[29:30]
	v_fma_f64 v[31:32], v[31:32], v[39:40], v[31:32]
	v_mul_f64 v[35:36], v[33:34], v[29:30]
	v_mul_f64 v[39:40], v[37:38], v[31:32]
	v_fma_f64 v[25:26], -v[25:26], v[35:36], v[33:34]
	v_fma_f64 v[27:28], -v[27:28], v[39:40], v[37:38]
	v_div_fmas_f64 v[25:26], v[25:26], v[29:30], v[35:36]
	s_mov_b64 vcc, s[2:3]
	v_div_fmas_f64 v[29:30], v[27:28], v[31:32], v[39:40]
	v_div_fixup_f64 v[15:16], v[25:26], v[15:16], v[9:10]
	ds_read2st64_b64 v[25:28], v41 offset0:12 offset1:14
	v_div_fixup_f64 v[17:18], v[29:30], v[23:24], v[17:18]
	s_waitcnt lgkmcnt(0)
	v_fma_f64 v[23:24], -v[15:16], v[25:26], v[11:12]
	v_fma_f64 v[19:20], -v[15:16], v[27:28], v[19:20]
	ds_read2st64_b64 v[9:12], v6 offset0:12 offset1:14
	v_mul_f64 v[13:14], v[15:16], -v[13:14]
	s_waitcnt lgkmcnt(0)
	; wave barrier
	v_min_u32_e32 v6, 55, v0
	v_mul_f64 v[9:10], v[17:18], -v[9:10]
	v_fma_f64 v[15:16], -v[17:18], v[21:22], v[23:24]
	v_fma_f64 v[11:12], -v[17:18], v[11:12], v[19:20]
	v_sub_u32_e64 v17, v0, 8 clamp
	v_lshlrev_b32_e32 v41, 3, v17
	ds_write2st64_b64 v5, v[13:14], v[15:16] offset0:10 offset1:11
	ds_write2st64_b64 v5, v[9:10], v[11:12] offset0:12 offset1:14
	s_waitcnt lgkmcnt(0)
	; wave barrier
	ds_read2st64_b64 v[9:12], v5 offset0:10 offset1:11
	ds_read2st64_b64 v[13:16], v41 offset0:10 offset1:11
	v_lshlrev_b32_e32 v6, 3, v6
	v_add_u32_e32 v6, 64, v6
	ds_read2st64_b64 v[17:20], v5 offset0:12 offset1:14
	ds_read2st64_b64 v[21:24], v6 offset0:10 offset1:11
	;; [unrolled: 49-line block ×3, first 2 shown]
	s_waitcnt lgkmcnt(2)
	v_div_scale_f64 v[25:26], s[2:3], v[15:16], v[15:16], v[9:10]
	s_waitcnt lgkmcnt(0)
	v_div_scale_f64 v[27:28], s[2:3], v[23:24], v[23:24], v[17:18]
	v_div_scale_f64 v[37:38], s[2:3], v[17:18], v[23:24], v[17:18]
	v_rcp_f64_e32 v[29:30], v[25:26]
	v_rcp_f64_e32 v[31:32], v[27:28]
	v_fma_f64 v[33:34], -v[25:26], v[29:30], 1.0
	v_fma_f64 v[35:36], -v[27:28], v[31:32], 1.0
	v_fma_f64 v[29:30], v[29:30], v[33:34], v[29:30]
	v_div_scale_f64 v[33:34], vcc, v[9:10], v[15:16], v[9:10]
	v_fma_f64 v[31:32], v[31:32], v[35:36], v[31:32]
	v_fma_f64 v[35:36], -v[25:26], v[29:30], 1.0
	v_fma_f64 v[39:40], -v[27:28], v[31:32], 1.0
	v_fma_f64 v[29:30], v[29:30], v[35:36], v[29:30]
	v_fma_f64 v[31:32], v[31:32], v[39:40], v[31:32]
	v_mul_f64 v[35:36], v[33:34], v[29:30]
	v_mul_f64 v[39:40], v[37:38], v[31:32]
	v_fma_f64 v[25:26], -v[25:26], v[35:36], v[33:34]
	v_fma_f64 v[27:28], -v[27:28], v[39:40], v[37:38]
	v_div_fmas_f64 v[25:26], v[25:26], v[29:30], v[35:36]
	s_mov_b64 vcc, s[2:3]
	v_div_fmas_f64 v[29:30], v[27:28], v[31:32], v[39:40]
	v_cmp_gt_u32_e32 vcc, 32, v0
	v_div_fixup_f64 v[15:16], v[25:26], v[15:16], v[9:10]
	ds_read2st64_b64 v[25:28], v41 offset0:12 offset1:14
	v_div_fixup_f64 v[17:18], v[29:30], v[23:24], v[17:18]
	s_waitcnt lgkmcnt(0)
	v_fma_f64 v[23:24], -v[15:16], v[25:26], v[11:12]
	v_fma_f64 v[19:20], -v[15:16], v[27:28], v[19:20]
	ds_read2st64_b64 v[9:12], v6 offset0:12 offset1:14
	v_mul_f64 v[13:14], v[15:16], -v[13:14]
	s_waitcnt lgkmcnt(0)
	; wave barrier
	v_mul_f64 v[9:10], v[17:18], -v[9:10]
	v_fma_f64 v[15:16], -v[17:18], v[21:22], v[23:24]
	v_fma_f64 v[11:12], -v[17:18], v[11:12], v[19:20]
	ds_write2st64_b64 v5, v[13:14], v[15:16] offset0:10 offset1:11
	ds_write2st64_b64 v5, v[9:10], v[11:12] offset0:12 offset1:14
	s_waitcnt lgkmcnt(0)
	; wave barrier
	s_and_saveexec_b64 s[2:3], vcc
	s_cbranch_execz .LBB31_4
; %bb.3:
	v_or_b32_e32 v9, 0x1800, v5
	v_or_b32_e32 v6, 0x1400, v5
	ds_read_b64 v[17:18], v9
	ds_read_b64 v[19:20], v6 offset:256
	v_or_b32_e32 v6, 0x1600, v5
	ds_read2_b64 v[9:12], v6 offset1:32
	v_or_b32_e32 v6, 0x1c00, v5
	s_waitcnt lgkmcnt(1)
	v_mul_f64 v[13:14], v[17:18], v[19:20]
	s_waitcnt lgkmcnt(0)
	v_fma_f64 v[21:22], v[11:12], v[9:10], -v[13:14]
	v_div_scale_f64 v[13:14], s[4:5], v[21:22], v[21:22], 1.0
	v_rcp_f64_e32 v[15:16], v[13:14]
	v_fma_f64 v[23:24], -v[13:14], v[15:16], 1.0
	v_fma_f64 v[15:16], v[15:16], v[23:24], v[15:16]
	v_div_scale_f64 v[23:24], vcc, 1.0, v[21:22], 1.0
	v_fma_f64 v[25:26], -v[13:14], v[15:16], 1.0
	v_fma_f64 v[15:16], v[15:16], v[25:26], v[15:16]
	v_mul_f64 v[25:26], v[23:24], v[15:16]
	v_fma_f64 v[13:14], -v[13:14], v[25:26], v[23:24]
	v_div_fmas_f64 v[23:24], v[13:14], v[15:16], v[25:26]
	ds_read2_b64 v[13:16], v6 offset1:32
	v_add_u32_e32 v6, 0x1800, v5
	s_waitcnt lgkmcnt(0)
	v_mul_f64 v[17:18], v[17:18], v[15:16]
	v_mul_f64 v[19:20], v[19:20], v[13:14]
	v_fma_f64 v[11:12], v[11:12], v[13:14], -v[17:18]
	v_fma_f64 v[9:10], v[9:10], v[15:16], -v[19:20]
	v_div_fixup_f64 v[13:14], v[23:24], v[21:22], 1.0
	v_mul_f64 v[11:12], v[13:14], v[11:12]
	v_mul_f64 v[9:10], v[13:14], v[9:10]
	ds_write2_b64 v6, v[11:12], v[9:10] offset0:64 offset1:96
.LBB31_4:
	s_or_b64 exec, exec, s[2:3]
	s_waitcnt lgkmcnt(0)
	; wave barrier
	ds_read_b64 v[5:6], v5 offset:6656
	v_lshlrev_b32_e32 v10, 4, v0
	v_or_b32_e32 v9, 0xc00, v10
	s_waitcnt lgkmcnt(0)
	ds_write_b64 v10, v[5:6] offset:3080
	s_waitcnt lgkmcnt(0)
	; wave barrier
	s_and_saveexec_b64 s[2:3], s[0:1]
	s_cbranch_execz .LBB31_9
; %bb.5:
	ds_read_b64 v[5:6], v8 offset:4096
	v_or_b32_e32 v10, 0x400, v8
	v_cmp_ne_u32_e32 vcc, 0, v0
	s_and_saveexec_b64 s[0:1], vcc
	s_xor_b64 s[0:1], exec, s[0:1]
	s_cbranch_execz .LBB31_7
; %bb.6:
	v_add_u32_e32 v0, -8, v9
	ds_read_b64 v[11:12], v8
	ds_read_b64 v[13:14], v8 offset:2048
	ds_read_b64 v[15:16], v0
	ds_read_b64 v[17:18], v9 offset:8
                                        ; implicit-def: $vgpr8
	s_waitcnt lgkmcnt(1)
	v_fma_f64 v[5:6], -v[11:12], v[15:16], v[5:6]
	ds_read_b64 v[10:11], v10
	s_waitcnt lgkmcnt(1)
	v_fma_f64 v[5:6], -v[13:14], v[17:18], v[5:6]
	s_waitcnt lgkmcnt(0)
	v_div_scale_f64 v[12:13], s[4:5], v[10:11], v[10:11], v[5:6]
	v_div_scale_f64 v[18:19], vcc, v[5:6], v[10:11], v[5:6]
	v_rcp_f64_e32 v[14:15], v[12:13]
	v_fma_f64 v[16:17], -v[12:13], v[14:15], 1.0
	v_fma_f64 v[14:15], v[14:15], v[16:17], v[14:15]
	v_fma_f64 v[16:17], -v[12:13], v[14:15], 1.0
	v_fma_f64 v[14:15], v[14:15], v[16:17], v[14:15]
	v_mul_f64 v[16:17], v[18:19], v[14:15]
	v_fma_f64 v[12:13], -v[12:13], v[16:17], v[18:19]
	v_div_fmas_f64 v[12:13], v[12:13], v[14:15], v[16:17]
	v_div_fixup_f64 v[5:6], v[12:13], v[10:11], v[5:6]
                                        ; implicit-def: $vgpr10
	ds_write_b64 v9, v[5:6]
                                        ; implicit-def: $vgpr5_vgpr6
.LBB31_7:
	s_andn2_saveexec_b64 s[0:1], s[0:1]
	s_cbranch_execz .LBB31_9
; %bb.8:
	ds_read_b64 v[11:12], v8 offset:2048
	ds_read_b64 v[13:14], v10
	ds_read_b64 v[15:16], v9 offset:8
	s_waitcnt lgkmcnt(0)
	v_fma_f64 v[5:6], -v[11:12], v[15:16], v[5:6]
	v_div_scale_f64 v[10:11], s[0:1], v[13:14], v[13:14], v[5:6]
	v_div_scale_f64 v[19:20], vcc, v[5:6], v[13:14], v[5:6]
	v_rcp_f64_e32 v[15:16], v[10:11]
	v_fma_f64 v[17:18], -v[10:11], v[15:16], 1.0
	v_fma_f64 v[15:16], v[15:16], v[17:18], v[15:16]
	v_fma_f64 v[17:18], -v[10:11], v[15:16], 1.0
	v_fma_f64 v[15:16], v[15:16], v[17:18], v[15:16]
	v_mul_f64 v[17:18], v[19:20], v[15:16]
	v_fma_f64 v[10:11], -v[10:11], v[17:18], v[19:20]
	v_div_fmas_f64 v[10:11], v[10:11], v[15:16], v[17:18]
	v_div_fixup_f64 v[5:6], v[10:11], v[13:14], v[5:6]
	ds_write_b64 v9, v[5:6]
.LBB31_9:
	s_or_b64 exec, exec, s[2:3]
	v_sub_u32_e32 v0, v9, v7
	s_waitcnt lgkmcnt(0)
	; wave barrier
	ds_read2st64_b64 v[5:8], v0 offset1:1
	s_waitcnt lgkmcnt(0)
	global_store_dwordx2 v[1:2], v[5:6], off
	global_store_dwordx2 v[3:4], v[7:8], off
	s_endpgm
	.section	.rodata,"a",@progbits
	.p2align	6, 0x0
	.amdhsa_kernel _ZN9rocsparseL37gtsv_nopivot_crpcr_pow2_shared_kernelILj64ELj64EdEEviiiPKT1_S3_S3_PS1_
		.amdhsa_group_segment_fixed_size 7680
		.amdhsa_private_segment_fixed_size 0
		.amdhsa_kernarg_size 48
		.amdhsa_user_sgpr_count 6
		.amdhsa_user_sgpr_private_segment_buffer 1
		.amdhsa_user_sgpr_dispatch_ptr 0
		.amdhsa_user_sgpr_queue_ptr 0
		.amdhsa_user_sgpr_kernarg_segment_ptr 1
		.amdhsa_user_sgpr_dispatch_id 0
		.amdhsa_user_sgpr_flat_scratch_init 0
		.amdhsa_user_sgpr_private_segment_size 0
		.amdhsa_uses_dynamic_stack 0
		.amdhsa_system_sgpr_private_segment_wavefront_offset 0
		.amdhsa_system_sgpr_workgroup_id_x 1
		.amdhsa_system_sgpr_workgroup_id_y 0
		.amdhsa_system_sgpr_workgroup_id_z 0
		.amdhsa_system_sgpr_workgroup_info 0
		.amdhsa_system_vgpr_workitem_id 0
		.amdhsa_next_free_vgpr 85
		.amdhsa_next_free_sgpr 98
		.amdhsa_reserve_vcc 1
		.amdhsa_reserve_flat_scratch 0
		.amdhsa_float_round_mode_32 0
		.amdhsa_float_round_mode_16_64 0
		.amdhsa_float_denorm_mode_32 3
		.amdhsa_float_denorm_mode_16_64 3
		.amdhsa_dx10_clamp 1
		.amdhsa_ieee_mode 1
		.amdhsa_fp16_overflow 0
		.amdhsa_exception_fp_ieee_invalid_op 0
		.amdhsa_exception_fp_denorm_src 0
		.amdhsa_exception_fp_ieee_div_zero 0
		.amdhsa_exception_fp_ieee_overflow 0
		.amdhsa_exception_fp_ieee_underflow 0
		.amdhsa_exception_fp_ieee_inexact 0
		.amdhsa_exception_int_div_zero 0
	.end_amdhsa_kernel
	.section	.text._ZN9rocsparseL37gtsv_nopivot_crpcr_pow2_shared_kernelILj64ELj64EdEEviiiPKT1_S3_S3_PS1_,"axG",@progbits,_ZN9rocsparseL37gtsv_nopivot_crpcr_pow2_shared_kernelILj64ELj64EdEEviiiPKT1_S3_S3_PS1_,comdat
.Lfunc_end31:
	.size	_ZN9rocsparseL37gtsv_nopivot_crpcr_pow2_shared_kernelILj64ELj64EdEEviiiPKT1_S3_S3_PS1_, .Lfunc_end31-_ZN9rocsparseL37gtsv_nopivot_crpcr_pow2_shared_kernelILj64ELj64EdEEviiiPKT1_S3_S3_PS1_
                                        ; -- End function
	.set _ZN9rocsparseL37gtsv_nopivot_crpcr_pow2_shared_kernelILj64ELj64EdEEviiiPKT1_S3_S3_PS1_.num_vgpr, 50
	.set _ZN9rocsparseL37gtsv_nopivot_crpcr_pow2_shared_kernelILj64ELj64EdEEviiiPKT1_S3_S3_PS1_.num_agpr, 0
	.set _ZN9rocsparseL37gtsv_nopivot_crpcr_pow2_shared_kernelILj64ELj64EdEEviiiPKT1_S3_S3_PS1_.numbered_sgpr, 16
	.set _ZN9rocsparseL37gtsv_nopivot_crpcr_pow2_shared_kernelILj64ELj64EdEEviiiPKT1_S3_S3_PS1_.num_named_barrier, 0
	.set _ZN9rocsparseL37gtsv_nopivot_crpcr_pow2_shared_kernelILj64ELj64EdEEviiiPKT1_S3_S3_PS1_.private_seg_size, 0
	.set _ZN9rocsparseL37gtsv_nopivot_crpcr_pow2_shared_kernelILj64ELj64EdEEviiiPKT1_S3_S3_PS1_.uses_vcc, 1
	.set _ZN9rocsparseL37gtsv_nopivot_crpcr_pow2_shared_kernelILj64ELj64EdEEviiiPKT1_S3_S3_PS1_.uses_flat_scratch, 0
	.set _ZN9rocsparseL37gtsv_nopivot_crpcr_pow2_shared_kernelILj64ELj64EdEEviiiPKT1_S3_S3_PS1_.has_dyn_sized_stack, 0
	.set _ZN9rocsparseL37gtsv_nopivot_crpcr_pow2_shared_kernelILj64ELj64EdEEviiiPKT1_S3_S3_PS1_.has_recursion, 0
	.set _ZN9rocsparseL37gtsv_nopivot_crpcr_pow2_shared_kernelILj64ELj64EdEEviiiPKT1_S3_S3_PS1_.has_indirect_call, 0
	.section	.AMDGPU.csdata,"",@progbits
; Kernel info:
; codeLenInByte = 3000
; TotalNumSgprs: 20
; NumVgprs: 50
; ScratchSize: 0
; MemoryBound: 1
; FloatMode: 240
; IeeeMode: 1
; LDSByteSize: 7680 bytes/workgroup (compile time only)
; SGPRBlocks: 12
; VGPRBlocks: 21
; NumSGPRsForWavesPerEU: 102
; NumVGPRsForWavesPerEU: 85
; Occupancy: 2
; WaveLimiterHint : 1
; COMPUTE_PGM_RSRC2:SCRATCH_EN: 0
; COMPUTE_PGM_RSRC2:USER_SGPR: 6
; COMPUTE_PGM_RSRC2:TRAP_HANDLER: 0
; COMPUTE_PGM_RSRC2:TGID_X_EN: 1
; COMPUTE_PGM_RSRC2:TGID_Y_EN: 0
; COMPUTE_PGM_RSRC2:TGID_Z_EN: 0
; COMPUTE_PGM_RSRC2:TIDIG_COMP_CNT: 0
	.section	.text._ZN9rocsparseL37gtsv_nopivot_crpcr_pow2_shared_kernelILj128ELj64EdEEviiiPKT1_S3_S3_PS1_,"axG",@progbits,_ZN9rocsparseL37gtsv_nopivot_crpcr_pow2_shared_kernelILj128ELj64EdEEviiiPKT1_S3_S3_PS1_,comdat
	.globl	_ZN9rocsparseL37gtsv_nopivot_crpcr_pow2_shared_kernelILj128ELj64EdEEviiiPKT1_S3_S3_PS1_ ; -- Begin function _ZN9rocsparseL37gtsv_nopivot_crpcr_pow2_shared_kernelILj128ELj64EdEEviiiPKT1_S3_S3_PS1_
	.p2align	8
	.type	_ZN9rocsparseL37gtsv_nopivot_crpcr_pow2_shared_kernelILj128ELj64EdEEviiiPKT1_S3_S3_PS1_,@function
_ZN9rocsparseL37gtsv_nopivot_crpcr_pow2_shared_kernelILj128ELj64EdEEviiiPKT1_S3_S3_PS1_: ; @_ZN9rocsparseL37gtsv_nopivot_crpcr_pow2_shared_kernelILj128ELj64EdEEviiiPKT1_S3_S3_PS1_
; %bb.0:
	s_load_dwordx8 s[8:15], s[4:5], 0x10
	s_load_dword s0, s[4:5], 0x8
	v_mov_b32_e32 v4, 0
	v_lshlrev_b32_e32 v13, 3, v0
	v_add_u32_e32 v19, 1, v0
	s_waitcnt lgkmcnt(0)
	v_mov_b32_e32 v18, s15
	s_mul_i32 s0, s0, s6
	v_add_u32_e32 v3, s0, v0
	v_lshlrev_b64 v[1:2], 3, v[3:4]
	v_add_u32_e32 v3, 0x80, v3
	v_add_co_u32_e32 v1, vcc, s14, v1
	v_lshlrev_b64 v[3:4], 3, v[3:4]
	v_addc_co_u32_e32 v2, vcc, v18, v2, vcc
	v_add_co_u32_e32 v3, vcc, s14, v3
	global_load_dwordx2 v[5:6], v13, s[8:9]
	global_load_dwordx2 v[7:8], v13, s[8:9] offset:1024
	global_load_dwordx2 v[9:10], v13, s[10:11]
	global_load_dwordx2 v[11:12], v13, s[12:13]
	global_load_dwordx2 v[14:15], v13, s[10:11] offset:1024
	global_load_dwordx2 v[16:17], v13, s[12:13] offset:1024
	v_addc_co_u32_e32 v4, vcc, v18, v4, vcc
	global_load_dwordx2 v[20:21], v[1:2], off
	global_load_dwordx2 v[22:23], v[3:4], off
	s_movk_i32 s0, 0x80
	v_cmp_gt_u32_e64 s[0:1], s0, v0
	s_waitcnt vmcnt(6)
	ds_write2st64_b64 v13, v[5:6], v[7:8] offset1:2
	s_waitcnt vmcnt(3)
	ds_write2st64_b64 v13, v[9:10], v[14:15] offset0:4 offset1:6
	s_waitcnt vmcnt(2)
	ds_write2st64_b64 v13, v[11:12], v[16:17] offset0:8 offset1:10
	;; [unrolled: 2-line block ×3, first 2 shown]
	s_waitcnt lgkmcnt(0)
	s_barrier
	s_and_saveexec_b64 s[4:5], s[0:1]
	s_cbranch_execz .LBB32_2
; %bb.1:
	v_lshlrev_b32_e32 v18, 4, v19
	v_add_u32_e32 v5, -16, v18
	ds_read_b128 v[5:8], v5
	ds_read_b128 v[9:12], v18 offset:2032
	v_lshlrev_b32_e32 v14, 1, v19
	v_min_u32_e32 v24, 0xff, v14
	v_lshlrev_b32_e32 v44, 3, v24
	ds_read_b128 v[14:17], v18 offset:4080
	ds_read_b128 v[20:23], v18 offset:8176
	s_waitcnt lgkmcnt(2)
	v_div_scale_f64 v[28:29], s[2:3], v[9:10], v[9:10], v[7:8]
	ds_read2st64_b64 v[24:27], v44 offset1:4
	s_waitcnt lgkmcnt(0)
	v_div_scale_f64 v[30:31], s[2:3], v[26:27], v[26:27], v[16:17]
	v_div_scale_f64 v[40:41], s[2:3], v[16:17], v[26:27], v[16:17]
	v_rcp_f64_e32 v[32:33], v[28:29]
	v_rcp_f64_e32 v[34:35], v[30:31]
	v_fma_f64 v[36:37], -v[28:29], v[32:33], 1.0
	v_fma_f64 v[38:39], -v[30:31], v[34:35], 1.0
	v_fma_f64 v[32:33], v[32:33], v[36:37], v[32:33]
	v_div_scale_f64 v[36:37], vcc, v[7:8], v[9:10], v[7:8]
	v_fma_f64 v[34:35], v[34:35], v[38:39], v[34:35]
	v_fma_f64 v[38:39], -v[28:29], v[32:33], 1.0
	v_fma_f64 v[42:43], -v[30:31], v[34:35], 1.0
	v_fma_f64 v[32:33], v[32:33], v[38:39], v[32:33]
	v_fma_f64 v[34:35], v[34:35], v[42:43], v[34:35]
	v_mul_f64 v[38:39], v[36:37], v[32:33]
	v_mul_f64 v[42:43], v[40:41], v[34:35]
	v_fma_f64 v[28:29], -v[28:29], v[38:39], v[36:37]
	v_fma_f64 v[30:31], -v[30:31], v[42:43], v[40:41]
	v_div_fmas_f64 v[28:29], v[28:29], v[32:33], v[38:39]
	s_mov_b64 vcc, s[2:3]
	v_div_fmas_f64 v[30:31], v[30:31], v[34:35], v[42:43]
	v_div_fixup_f64 v[28:29], v[28:29], v[9:10], v[7:8]
	ds_read2st64_b64 v[7:10], v44 offset0:8 offset1:16
	v_div_fixup_f64 v[16:17], v[30:31], v[26:27], v[16:17]
	v_fma_f64 v[20:21], -v[28:29], v[20:21], v[22:23]
	v_fma_f64 v[11:12], -v[28:29], v[14:15], v[11:12]
	v_mul_f64 v[5:6], v[28:29], -v[5:6]
	v_add_u32_e32 v14, -8, v18
	v_add_u32_e32 v15, 0x1f8, v18
	s_waitcnt lgkmcnt(0)
	v_mul_f64 v[7:8], v[16:17], -v[7:8]
	v_fma_f64 v[9:10], -v[16:17], v[9:10], v[20:21]
	v_fma_f64 v[11:12], -v[16:17], v[24:25], v[11:12]
	ds_write_b64 v14, v[5:6]
	ds_write_b64 v18, v[9:10] offset:8184
	ds_write2st64_b64 v15, v[11:12], v[7:8] offset0:3 offset1:7
.LBB32_2:
	s_or_b64 exec, exec, s[4:5]
	v_cmp_gt_u32_e64 s[2:3], 64, v0
	v_lshlrev_b32_e32 v14, 5, v19
	s_waitcnt lgkmcnt(0)
	s_barrier
	s_and_saveexec_b64 s[6:7], s[2:3]
	s_cbranch_execz .LBB32_4
; %bb.3:
	v_add_u32_e32 v40, -8, v14
	ds_read_b64 v[20:21], v40
	ds_read2_b64 v[5:8], v14 offset0:253 offset1:255
	v_lshl_or_b32 v9, v19, 2, 1
	v_min_u32_e32 v15, 0xff, v9
	v_subrev_u32_e32 v9, 24, v14
	ds_read_b64 v[24:25], v9
	s_waitcnt lgkmcnt(1)
	v_div_scale_f64 v[22:23], s[4:5], v[5:6], v[5:6], v[20:21]
	v_add_u32_e32 v9, 0x800, v14
	v_lshlrev_b32_e32 v41, 3, v15
	ds_read2_b64 v[9:12], v9 offset0:253 offset1:255
	ds_read2st64_b64 v[15:18], v41 offset1:4
	s_waitcnt lgkmcnt(0)
	v_div_scale_f64 v[26:27], s[4:5], v[17:18], v[17:18], v[11:12]
	v_div_scale_f64 v[36:37], s[4:5], v[11:12], v[17:18], v[11:12]
	v_rcp_f64_e32 v[28:29], v[22:23]
	v_rcp_f64_e32 v[30:31], v[26:27]
	v_fma_f64 v[32:33], -v[22:23], v[28:29], 1.0
	v_fma_f64 v[28:29], v[28:29], v[32:33], v[28:29]
	v_div_scale_f64 v[32:33], vcc, v[20:21], v[5:6], v[20:21]
	v_fma_f64 v[34:35], -v[26:27], v[30:31], 1.0
	v_fma_f64 v[30:31], v[30:31], v[34:35], v[30:31]
	v_fma_f64 v[34:35], -v[22:23], v[28:29], 1.0
	v_fma_f64 v[38:39], -v[26:27], v[30:31], 1.0
	v_fma_f64 v[28:29], v[28:29], v[34:35], v[28:29]
	v_fma_f64 v[30:31], v[30:31], v[38:39], v[30:31]
	v_mul_f64 v[34:35], v[32:33], v[28:29]
	v_mul_f64 v[38:39], v[36:37], v[30:31]
	v_fma_f64 v[22:23], -v[22:23], v[34:35], v[32:33]
	v_fma_f64 v[26:27], -v[26:27], v[38:39], v[36:37]
	v_div_fmas_f64 v[22:23], v[22:23], v[28:29], v[34:35]
	s_mov_b64 vcc, s[4:5]
	v_div_fmas_f64 v[26:27], v[26:27], v[30:31], v[38:39]
	v_div_fixup_f64 v[28:29], v[22:23], v[5:6], v[20:21]
	v_add_u32_e32 v5, 0x1800, v14
	ds_read2_b64 v[20:23], v5 offset0:253 offset1:255
	v_div_fixup_f64 v[11:12], v[26:27], v[17:18], v[11:12]
	s_waitcnt lgkmcnt(0)
	v_fma_f64 v[17:18], -v[28:29], v[20:21], v[22:23]
	v_fma_f64 v[9:10], -v[28:29], v[9:10], v[7:8]
	ds_read2st64_b64 v[5:8], v41 offset0:8 offset1:16
	v_mul_f64 v[20:21], v[28:29], -v[24:25]
	s_waitcnt lgkmcnt(0)
	v_mul_f64 v[5:6], v[11:12], -v[5:6]
	v_fma_f64 v[7:8], -v[11:12], v[7:8], v[17:18]
	v_fma_f64 v[9:10], -v[11:12], v[15:16], v[9:10]
	v_add_u32_e32 v11, 0x1f8, v14
	ds_write_b64 v40, v[20:21]
	ds_write_b64 v14, v[7:8] offset:8184
	ds_write2st64_b64 v11, v[9:10], v[5:6] offset0:3 offset1:7
.LBB32_4:
	s_or_b64 exec, exec, s[6:7]
	s_waitcnt lgkmcnt(0)
	s_barrier
	s_and_saveexec_b64 s[4:5], s[2:3]
	s_cbranch_execz .LBB32_6
; %bb.5:
	v_add_u32_e32 v9, -8, v14
	v_add_u32_e32 v5, 0x1f8, v14
	ds_read2st64_b64 v[5:8], v5 offset0:3 offset1:7
	ds_read_b64 v[9:10], v9
	ds_read_b64 v[11:12], v14 offset:8184
	s_waitcnt lgkmcnt(1)
	ds_write2st64_b64 v13, v[9:10], v[5:6] offset0:20 offset1:21
	s_waitcnt lgkmcnt(1)
	ds_write2st64_b64 v13, v[7:8], v[11:12] offset0:22 offset1:24
.LBB32_6:
	s_or_b64 exec, exec, s[4:5]
	v_or_b32_e32 v16, 0x2800, v13
	v_or_b32_e32 v18, 0x2c00, v13
	v_add_u32_e32 v17, 0x2a00, v13
	v_or_b32_e32 v15, 0x3000, v13
	s_waitcnt lgkmcnt(0)
	s_barrier
                                        ; implicit-def: $vgpr9_vgpr10
                                        ; implicit-def: $vgpr11_vgpr12
                                        ; implicit-def: $vgpr7_vgpr8
                                        ; implicit-def: $vgpr5_vgpr6
	s_and_saveexec_b64 s[6:7], s[2:3]
	s_cbranch_execz .LBB32_8
; %bb.7:
	v_sub_u32_e64 v5, v0, 1 clamp
	v_lshlrev_b32_e32 v43, 3, v5
	v_min_u32_e32 v9, 63, v19
	ds_read2st64_b64 v[5:8], v43 offset0:20 offset1:21
	ds_read_b64 v[19:20], v16
	ds_read_b64 v[23:24], v18
	;; [unrolled: 1-line block ×4, first 2 shown]
	v_lshlrev_b32_e32 v44, 3, v9
	s_waitcnt lgkmcnt(3)
	v_div_scale_f64 v[21:22], s[4:5], v[7:8], v[7:8], v[19:20]
	ds_read2st64_b64 v[9:12], v44 offset0:20 offset1:21
	s_waitcnt lgkmcnt(0)
	v_div_scale_f64 v[29:30], s[4:5], v[11:12], v[11:12], v[23:24]
	v_div_scale_f64 v[39:40], s[4:5], v[23:24], v[11:12], v[23:24]
	v_rcp_f64_e32 v[31:32], v[21:22]
	v_rcp_f64_e32 v[33:34], v[29:30]
	v_fma_f64 v[35:36], -v[21:22], v[31:32], 1.0
	v_fma_f64 v[37:38], -v[29:30], v[33:34], 1.0
	v_fma_f64 v[31:32], v[31:32], v[35:36], v[31:32]
	v_div_scale_f64 v[35:36], vcc, v[19:20], v[7:8], v[19:20]
	v_fma_f64 v[33:34], v[33:34], v[37:38], v[33:34]
	v_fma_f64 v[37:38], -v[21:22], v[31:32], 1.0
	v_fma_f64 v[41:42], -v[29:30], v[33:34], 1.0
	v_fma_f64 v[31:32], v[31:32], v[37:38], v[31:32]
	v_fma_f64 v[33:34], v[33:34], v[41:42], v[33:34]
	v_mul_f64 v[37:38], v[35:36], v[31:32]
	v_mul_f64 v[41:42], v[39:40], v[33:34]
	v_fma_f64 v[21:22], -v[21:22], v[37:38], v[35:36]
	v_fma_f64 v[29:30], -v[29:30], v[41:42], v[39:40]
	v_div_fmas_f64 v[21:22], v[21:22], v[31:32], v[37:38]
	s_mov_b64 vcc, s[4:5]
	v_div_fmas_f64 v[29:30], v[29:30], v[33:34], v[41:42]
	v_div_fixup_f64 v[7:8], v[21:22], v[7:8], v[19:20]
	ds_read2st64_b64 v[19:22], v43 offset0:22 offset1:24
	v_div_fixup_f64 v[11:12], v[29:30], v[11:12], v[23:24]
	s_waitcnt lgkmcnt(0)
	v_fma_f64 v[23:24], -v[7:8], v[19:20], v[25:26]
	v_fma_f64 v[25:26], -v[7:8], v[21:22], v[27:28]
	ds_read2st64_b64 v[19:22], v44 offset0:22 offset1:24
	v_mul_f64 v[5:6], v[7:8], -v[5:6]
	v_fma_f64 v[7:8], -v[11:12], v[9:10], v[23:24]
	s_waitcnt lgkmcnt(0)
	v_fma_f64 v[9:10], -v[11:12], v[21:22], v[25:26]
	v_mul_f64 v[11:12], v[11:12], -v[19:20]
.LBB32_8:
	s_or_b64 exec, exec, s[6:7]
	s_barrier
	s_and_saveexec_b64 s[4:5], s[2:3]
	s_cbranch_execz .LBB32_10
; %bb.9:
	ds_write_b64 v17, v[7:8]
	ds_write_b64 v15, v[9:10]
	ds_write_b64 v16, v[5:6]
	ds_write_b64 v18, v[11:12]
.LBB32_10:
	s_or_b64 exec, exec, s[4:5]
	s_waitcnt lgkmcnt(0)
	s_barrier
	s_and_saveexec_b64 s[6:7], s[2:3]
	s_cbranch_execz .LBB32_12
; %bb.11:
	v_sub_u32_e64 v5, v0, 2 clamp
	v_lshlrev_b32_e32 v43, 3, v5
	ds_read2st64_b64 v[5:8], v43 offset0:20 offset1:21
	ds_read_b64 v[19:20], v16
	ds_read_b64 v[23:24], v18
	ds_read_b64 v[25:26], v17
	ds_read_b64 v[27:28], v15
	v_min_u32_e32 v9, 61, v0
	s_waitcnt lgkmcnt(3)
	v_div_scale_f64 v[21:22], s[4:5], v[7:8], v[7:8], v[19:20]
	v_lshlrev_b32_e32 v9, 3, v9
	v_add_u32_e32 v44, 16, v9
	ds_read2st64_b64 v[9:12], v44 offset0:20 offset1:21
	s_waitcnt lgkmcnt(0)
	v_div_scale_f64 v[29:30], s[4:5], v[11:12], v[11:12], v[23:24]
	v_div_scale_f64 v[39:40], s[4:5], v[23:24], v[11:12], v[23:24]
	v_rcp_f64_e32 v[31:32], v[21:22]
	v_rcp_f64_e32 v[33:34], v[29:30]
	v_fma_f64 v[35:36], -v[21:22], v[31:32], 1.0
	v_fma_f64 v[31:32], v[31:32], v[35:36], v[31:32]
	v_fma_f64 v[37:38], -v[29:30], v[33:34], 1.0
	v_div_scale_f64 v[35:36], vcc, v[19:20], v[7:8], v[19:20]
	v_fma_f64 v[33:34], v[33:34], v[37:38], v[33:34]
	v_fma_f64 v[37:38], -v[21:22], v[31:32], 1.0
	v_fma_f64 v[41:42], -v[29:30], v[33:34], 1.0
	v_fma_f64 v[31:32], v[31:32], v[37:38], v[31:32]
	v_fma_f64 v[33:34], v[33:34], v[41:42], v[33:34]
	v_mul_f64 v[37:38], v[35:36], v[31:32]
	v_mul_f64 v[41:42], v[39:40], v[33:34]
	v_fma_f64 v[21:22], -v[21:22], v[37:38], v[35:36]
	v_fma_f64 v[29:30], -v[29:30], v[41:42], v[39:40]
	v_div_fmas_f64 v[21:22], v[21:22], v[31:32], v[37:38]
	s_mov_b64 vcc, s[4:5]
	v_div_fmas_f64 v[29:30], v[29:30], v[33:34], v[41:42]
	v_div_fixup_f64 v[7:8], v[21:22], v[7:8], v[19:20]
	ds_read2st64_b64 v[19:22], v43 offset0:22 offset1:24
	v_div_fixup_f64 v[11:12], v[29:30], v[11:12], v[23:24]
	s_waitcnt lgkmcnt(0)
	v_fma_f64 v[23:24], -v[7:8], v[19:20], v[25:26]
	v_fma_f64 v[25:26], -v[7:8], v[21:22], v[27:28]
	ds_read2st64_b64 v[19:22], v44 offset0:22 offset1:24
	v_mul_f64 v[5:6], v[7:8], -v[5:6]
	v_fma_f64 v[7:8], -v[11:12], v[9:10], v[23:24]
	s_waitcnt lgkmcnt(0)
	v_fma_f64 v[9:10], -v[11:12], v[21:22], v[25:26]
	v_mul_f64 v[11:12], v[11:12], -v[19:20]
.LBB32_12:
	s_or_b64 exec, exec, s[6:7]
	s_barrier
	s_and_saveexec_b64 s[4:5], s[2:3]
	s_cbranch_execz .LBB32_14
; %bb.13:
	ds_write_b64 v17, v[7:8]
	ds_write_b64 v15, v[9:10]
	ds_write_b64 v16, v[5:6]
	ds_write_b64 v18, v[11:12]
.LBB32_14:
	s_or_b64 exec, exec, s[4:5]
	s_waitcnt lgkmcnt(0)
	s_barrier
	s_and_saveexec_b64 s[6:7], s[2:3]
	s_cbranch_execz .LBB32_16
; %bb.15:
	v_sub_u32_e64 v5, v0, 4 clamp
	v_lshlrev_b32_e32 v43, 3, v5
	ds_read2st64_b64 v[5:8], v43 offset0:20 offset1:21
	ds_read_b64 v[19:20], v16
	ds_read_b64 v[23:24], v18
	ds_read_b64 v[25:26], v17
	ds_read_b64 v[27:28], v15
	v_min_u32_e32 v9, 59, v0
	s_waitcnt lgkmcnt(3)
	v_div_scale_f64 v[21:22], s[4:5], v[7:8], v[7:8], v[19:20]
	v_lshlrev_b32_e32 v9, 3, v9
	v_add_u32_e32 v44, 32, v9
	ds_read2st64_b64 v[9:12], v44 offset0:20 offset1:21
	s_waitcnt lgkmcnt(0)
	v_div_scale_f64 v[29:30], s[4:5], v[11:12], v[11:12], v[23:24]
	v_div_scale_f64 v[39:40], s[4:5], v[23:24], v[11:12], v[23:24]
	v_rcp_f64_e32 v[31:32], v[21:22]
	v_rcp_f64_e32 v[33:34], v[29:30]
	v_fma_f64 v[35:36], -v[21:22], v[31:32], 1.0
	v_fma_f64 v[31:32], v[31:32], v[35:36], v[31:32]
	v_fma_f64 v[37:38], -v[29:30], v[33:34], 1.0
	v_div_scale_f64 v[35:36], vcc, v[19:20], v[7:8], v[19:20]
	v_fma_f64 v[33:34], v[33:34], v[37:38], v[33:34]
	v_fma_f64 v[37:38], -v[21:22], v[31:32], 1.0
	v_fma_f64 v[41:42], -v[29:30], v[33:34], 1.0
	v_fma_f64 v[31:32], v[31:32], v[37:38], v[31:32]
	v_fma_f64 v[33:34], v[33:34], v[41:42], v[33:34]
	v_mul_f64 v[37:38], v[35:36], v[31:32]
	v_mul_f64 v[41:42], v[39:40], v[33:34]
	v_fma_f64 v[21:22], -v[21:22], v[37:38], v[35:36]
	v_fma_f64 v[29:30], -v[29:30], v[41:42], v[39:40]
	v_div_fmas_f64 v[21:22], v[21:22], v[31:32], v[37:38]
	s_mov_b64 vcc, s[4:5]
	v_div_fmas_f64 v[29:30], v[29:30], v[33:34], v[41:42]
	v_div_fixup_f64 v[7:8], v[21:22], v[7:8], v[19:20]
	ds_read2st64_b64 v[19:22], v43 offset0:22 offset1:24
	v_div_fixup_f64 v[11:12], v[29:30], v[11:12], v[23:24]
	s_waitcnt lgkmcnt(0)
	v_fma_f64 v[23:24], -v[7:8], v[19:20], v[25:26]
	v_fma_f64 v[25:26], -v[7:8], v[21:22], v[27:28]
	ds_read2st64_b64 v[19:22], v44 offset0:22 offset1:24
	v_mul_f64 v[5:6], v[7:8], -v[5:6]
	v_fma_f64 v[7:8], -v[11:12], v[9:10], v[23:24]
	s_waitcnt lgkmcnt(0)
	v_fma_f64 v[9:10], -v[11:12], v[21:22], v[25:26]
	v_mul_f64 v[11:12], v[11:12], -v[19:20]
.LBB32_16:
	;; [unrolled: 63-line block ×4, first 2 shown]
	s_or_b64 exec, exec, s[6:7]
	s_barrier
	s_and_saveexec_b64 s[4:5], s[2:3]
	s_cbranch_execz .LBB32_26
; %bb.25:
	ds_write_b64 v17, v[7:8]
	ds_write_b64 v15, v[9:10]
	;; [unrolled: 1-line block ×4, first 2 shown]
.LBB32_26:
	s_or_b64 exec, exec, s[4:5]
	v_cmp_gt_u32_e32 vcc, 32, v0
	s_waitcnt lgkmcnt(0)
	s_barrier
	s_and_saveexec_b64 s[4:5], vcc
	s_cbranch_execz .LBB32_28
; %bb.27:
	ds_read_b64 v[18:19], v18
	ds_read_b64 v[20:21], v16 offset:256
	ds_read2_b64 v[5:8], v17 offset1:32
	s_waitcnt lgkmcnt(1)
	v_mul_f64 v[9:10], v[18:19], v[20:21]
	s_waitcnt lgkmcnt(0)
	v_fma_f64 v[16:17], v[7:8], v[5:6], -v[9:10]
	v_div_scale_f64 v[9:10], s[6:7], v[16:17], v[16:17], 1.0
	v_rcp_f64_e32 v[11:12], v[9:10]
	v_fma_f64 v[22:23], -v[9:10], v[11:12], 1.0
	v_fma_f64 v[11:12], v[11:12], v[22:23], v[11:12]
	v_div_scale_f64 v[22:23], vcc, 1.0, v[16:17], 1.0
	v_fma_f64 v[24:25], -v[9:10], v[11:12], 1.0
	v_fma_f64 v[11:12], v[11:12], v[24:25], v[11:12]
	v_mul_f64 v[24:25], v[22:23], v[11:12]
	v_fma_f64 v[9:10], -v[9:10], v[24:25], v[22:23]
	v_div_fmas_f64 v[22:23], v[9:10], v[11:12], v[24:25]
	ds_read2_b64 v[9:12], v15 offset1:32
	s_waitcnt lgkmcnt(0)
	v_mul_f64 v[18:19], v[18:19], v[11:12]
	v_mul_f64 v[20:21], v[20:21], v[9:10]
	v_fma_f64 v[7:8], v[7:8], v[9:10], -v[18:19]
	v_fma_f64 v[5:6], v[5:6], v[11:12], -v[20:21]
	v_div_fixup_f64 v[9:10], v[22:23], v[16:17], 1.0
	v_mul_f64 v[7:8], v[9:10], v[7:8]
	v_mul_f64 v[5:6], v[9:10], v[5:6]
	v_add_u32_e32 v9, 0x2800, v13
	ds_write2_b64 v9, v[7:8], v[5:6] offset0:192 offset1:224
.LBB32_28:
	s_or_b64 exec, exec, s[4:5]
	s_waitcnt lgkmcnt(0)
	s_barrier
	s_and_saveexec_b64 s[4:5], s[2:3]
	s_cbranch_execz .LBB32_30
; %bb.29:
	ds_read_b64 v[5:6], v13 offset:11776
	s_waitcnt lgkmcnt(0)
	ds_write_b64 v14, v[5:6] offset:6136
.LBB32_30:
	s_or_b64 exec, exec, s[4:5]
	s_waitcnt lgkmcnt(0)
	s_barrier
	s_and_saveexec_b64 s[4:5], s[2:3]
	s_cbranch_execz .LBB32_34
; %bb.31:
	v_lshlrev_b32_e32 v5, 5, v0
	ds_read_b64 v[5:6], v5 offset:8200
	v_lshlrev_b32_e32 v7, 2, v0
	v_cmp_ne_u32_e32 vcc, 0, v0
	v_lshlrev_b32_e32 v7, 3, v7
	s_and_saveexec_b64 s[2:3], vcc
	s_cbranch_execz .LBB32_33
; %bb.32:
	ds_read_b64 v[8:9], v7 offset:8
	ds_read_b64 v[10:11], v7 offset:6136
	s_waitcnt lgkmcnt(0)
	v_fma_f64 v[5:6], -v[8:9], v[10:11], v[5:6]
.LBB32_33:
	s_or_b64 exec, exec, s[2:3]
	v_add_u32_e32 v8, 8, v7
	ds_read_b64 v[14:15], v7 offset:6168
	ds_read2st64_b64 v[8:11], v8 offset0:4 offset1:8
	s_waitcnt lgkmcnt(0)
	v_fma_f64 v[5:6], -v[10:11], v[14:15], v[5:6]
	v_div_scale_f64 v[10:11], s[2:3], v[8:9], v[8:9], v[5:6]
	v_div_scale_f64 v[18:19], vcc, v[5:6], v[8:9], v[5:6]
	v_rcp_f64_e32 v[14:15], v[10:11]
	v_fma_f64 v[16:17], -v[10:11], v[14:15], 1.0
	v_fma_f64 v[14:15], v[14:15], v[16:17], v[14:15]
	v_fma_f64 v[16:17], -v[10:11], v[14:15], 1.0
	v_fma_f64 v[14:15], v[14:15], v[16:17], v[14:15]
	v_mul_f64 v[16:17], v[18:19], v[14:15]
	v_fma_f64 v[10:11], -v[10:11], v[16:17], v[18:19]
	v_div_fmas_f64 v[10:11], v[10:11], v[14:15], v[16:17]
	v_div_fixup_f64 v[5:6], v[10:11], v[8:9], v[5:6]
	ds_write_b64 v7, v[5:6] offset:6152
.LBB32_34:
	s_or_b64 exec, exec, s[4:5]
	s_waitcnt lgkmcnt(0)
	s_barrier
	s_and_saveexec_b64 s[2:3], s[0:1]
	s_cbranch_execz .LBB32_38
; %bb.35:
	v_lshlrev_b32_e32 v5, 4, v0
	ds_read_b64 v[5:6], v5 offset:8192
	v_lshlrev_b32_e32 v7, 1, v0
	v_cmp_ne_u32_e32 vcc, 0, v0
	v_lshlrev_b32_e32 v0, 3, v7
	s_and_saveexec_b64 s[0:1], vcc
	s_cbranch_execz .LBB32_37
; %bb.36:
	ds_read_b64 v[7:8], v0
	ds_read_b64 v[9:10], v0 offset:6136
	s_waitcnt lgkmcnt(0)
	v_fma_f64 v[5:6], -v[7:8], v[9:10], v[5:6]
.LBB32_37:
	s_or_b64 exec, exec, s[0:1]
	ds_read2st64_b64 v[7:10], v0 offset0:4 offset1:8
	ds_read_b64 v[11:12], v0 offset:6152
	s_waitcnt lgkmcnt(0)
	v_fma_f64 v[5:6], -v[9:10], v[11:12], v[5:6]
	v_div_scale_f64 v[9:10], s[0:1], v[7:8], v[7:8], v[5:6]
	v_div_scale_f64 v[16:17], vcc, v[5:6], v[7:8], v[5:6]
	v_rcp_f64_e32 v[11:12], v[9:10]
	v_fma_f64 v[14:15], -v[9:10], v[11:12], 1.0
	v_fma_f64 v[11:12], v[11:12], v[14:15], v[11:12]
	v_fma_f64 v[14:15], -v[9:10], v[11:12], 1.0
	v_fma_f64 v[11:12], v[11:12], v[14:15], v[11:12]
	v_mul_f64 v[14:15], v[16:17], v[11:12]
	v_fma_f64 v[9:10], -v[9:10], v[14:15], v[16:17]
	v_div_fmas_f64 v[9:10], v[9:10], v[11:12], v[14:15]
	v_div_fixup_f64 v[5:6], v[9:10], v[7:8], v[5:6]
	ds_write_b64 v0, v[5:6] offset:6144
.LBB32_38:
	s_or_b64 exec, exec, s[2:3]
	s_waitcnt lgkmcnt(0)
	s_barrier
	ds_read2st64_b64 v[5:8], v13 offset0:12 offset1:14
	s_waitcnt lgkmcnt(0)
	global_store_dwordx2 v[1:2], v[5:6], off
	global_store_dwordx2 v[3:4], v[7:8], off
	s_endpgm
	.section	.rodata,"a",@progbits
	.p2align	6, 0x0
	.amdhsa_kernel _ZN9rocsparseL37gtsv_nopivot_crpcr_pow2_shared_kernelILj128ELj64EdEEviiiPKT1_S3_S3_PS1_
		.amdhsa_group_segment_fixed_size 12800
		.amdhsa_private_segment_fixed_size 0
		.amdhsa_kernarg_size 48
		.amdhsa_user_sgpr_count 6
		.amdhsa_user_sgpr_private_segment_buffer 1
		.amdhsa_user_sgpr_dispatch_ptr 0
		.amdhsa_user_sgpr_queue_ptr 0
		.amdhsa_user_sgpr_kernarg_segment_ptr 1
		.amdhsa_user_sgpr_dispatch_id 0
		.amdhsa_user_sgpr_flat_scratch_init 0
		.amdhsa_user_sgpr_private_segment_size 0
		.amdhsa_uses_dynamic_stack 0
		.amdhsa_system_sgpr_private_segment_wavefront_offset 0
		.amdhsa_system_sgpr_workgroup_id_x 1
		.amdhsa_system_sgpr_workgroup_id_y 0
		.amdhsa_system_sgpr_workgroup_id_z 0
		.amdhsa_system_sgpr_workgroup_info 0
		.amdhsa_system_vgpr_workitem_id 0
		.amdhsa_next_free_vgpr 65
		.amdhsa_next_free_sgpr 98
		.amdhsa_reserve_vcc 1
		.amdhsa_reserve_flat_scratch 0
		.amdhsa_float_round_mode_32 0
		.amdhsa_float_round_mode_16_64 0
		.amdhsa_float_denorm_mode_32 3
		.amdhsa_float_denorm_mode_16_64 3
		.amdhsa_dx10_clamp 1
		.amdhsa_ieee_mode 1
		.amdhsa_fp16_overflow 0
		.amdhsa_exception_fp_ieee_invalid_op 0
		.amdhsa_exception_fp_denorm_src 0
		.amdhsa_exception_fp_ieee_div_zero 0
		.amdhsa_exception_fp_ieee_overflow 0
		.amdhsa_exception_fp_ieee_underflow 0
		.amdhsa_exception_fp_ieee_inexact 0
		.amdhsa_exception_int_div_zero 0
	.end_amdhsa_kernel
	.section	.text._ZN9rocsparseL37gtsv_nopivot_crpcr_pow2_shared_kernelILj128ELj64EdEEviiiPKT1_S3_S3_PS1_,"axG",@progbits,_ZN9rocsparseL37gtsv_nopivot_crpcr_pow2_shared_kernelILj128ELj64EdEEviiiPKT1_S3_S3_PS1_,comdat
.Lfunc_end32:
	.size	_ZN9rocsparseL37gtsv_nopivot_crpcr_pow2_shared_kernelILj128ELj64EdEEviiiPKT1_S3_S3_PS1_, .Lfunc_end32-_ZN9rocsparseL37gtsv_nopivot_crpcr_pow2_shared_kernelILj128ELj64EdEEviiiPKT1_S3_S3_PS1_
                                        ; -- End function
	.set _ZN9rocsparseL37gtsv_nopivot_crpcr_pow2_shared_kernelILj128ELj64EdEEviiiPKT1_S3_S3_PS1_.num_vgpr, 45
	.set _ZN9rocsparseL37gtsv_nopivot_crpcr_pow2_shared_kernelILj128ELj64EdEEviiiPKT1_S3_S3_PS1_.num_agpr, 0
	.set _ZN9rocsparseL37gtsv_nopivot_crpcr_pow2_shared_kernelILj128ELj64EdEEviiiPKT1_S3_S3_PS1_.numbered_sgpr, 16
	.set _ZN9rocsparseL37gtsv_nopivot_crpcr_pow2_shared_kernelILj128ELj64EdEEviiiPKT1_S3_S3_PS1_.num_named_barrier, 0
	.set _ZN9rocsparseL37gtsv_nopivot_crpcr_pow2_shared_kernelILj128ELj64EdEEviiiPKT1_S3_S3_PS1_.private_seg_size, 0
	.set _ZN9rocsparseL37gtsv_nopivot_crpcr_pow2_shared_kernelILj128ELj64EdEEviiiPKT1_S3_S3_PS1_.uses_vcc, 1
	.set _ZN9rocsparseL37gtsv_nopivot_crpcr_pow2_shared_kernelILj128ELj64EdEEviiiPKT1_S3_S3_PS1_.uses_flat_scratch, 0
	.set _ZN9rocsparseL37gtsv_nopivot_crpcr_pow2_shared_kernelILj128ELj64EdEEviiiPKT1_S3_S3_PS1_.has_dyn_sized_stack, 0
	.set _ZN9rocsparseL37gtsv_nopivot_crpcr_pow2_shared_kernelILj128ELj64EdEEviiiPKT1_S3_S3_PS1_.has_recursion, 0
	.set _ZN9rocsparseL37gtsv_nopivot_crpcr_pow2_shared_kernelILj128ELj64EdEEviiiPKT1_S3_S3_PS1_.has_indirect_call, 0
	.section	.AMDGPU.csdata,"",@progbits
; Kernel info:
; codeLenInByte = 3764
; TotalNumSgprs: 20
; NumVgprs: 45
; ScratchSize: 0
; MemoryBound: 0
; FloatMode: 240
; IeeeMode: 1
; LDSByteSize: 12800 bytes/workgroup (compile time only)
; SGPRBlocks: 12
; VGPRBlocks: 16
; NumSGPRsForWavesPerEU: 102
; NumVGPRsForWavesPerEU: 65
; Occupancy: 3
; WaveLimiterHint : 1
; COMPUTE_PGM_RSRC2:SCRATCH_EN: 0
; COMPUTE_PGM_RSRC2:USER_SGPR: 6
; COMPUTE_PGM_RSRC2:TRAP_HANDLER: 0
; COMPUTE_PGM_RSRC2:TGID_X_EN: 1
; COMPUTE_PGM_RSRC2:TGID_Y_EN: 0
; COMPUTE_PGM_RSRC2:TGID_Z_EN: 0
; COMPUTE_PGM_RSRC2:TIDIG_COMP_CNT: 0
	.section	.text._ZN9rocsparseL37gtsv_nopivot_crpcr_pow2_shared_kernelILj256ELj64EdEEviiiPKT1_S3_S3_PS1_,"axG",@progbits,_ZN9rocsparseL37gtsv_nopivot_crpcr_pow2_shared_kernelILj256ELj64EdEEviiiPKT1_S3_S3_PS1_,comdat
	.globl	_ZN9rocsparseL37gtsv_nopivot_crpcr_pow2_shared_kernelILj256ELj64EdEEviiiPKT1_S3_S3_PS1_ ; -- Begin function _ZN9rocsparseL37gtsv_nopivot_crpcr_pow2_shared_kernelILj256ELj64EdEEviiiPKT1_S3_S3_PS1_
	.p2align	8
	.type	_ZN9rocsparseL37gtsv_nopivot_crpcr_pow2_shared_kernelILj256ELj64EdEEviiiPKT1_S3_S3_PS1_,@function
_ZN9rocsparseL37gtsv_nopivot_crpcr_pow2_shared_kernelILj256ELj64EdEEviiiPKT1_S3_S3_PS1_: ; @_ZN9rocsparseL37gtsv_nopivot_crpcr_pow2_shared_kernelILj256ELj64EdEEviiiPKT1_S3_S3_PS1_
; %bb.0:
	s_load_dwordx8 s[8:15], s[4:5], 0x10
	s_load_dword s0, s[4:5], 0x8
	v_mov_b32_e32 v4, 0
	v_lshlrev_b32_e32 v13, 3, v0
	v_add_u32_e32 v19, 1, v0
	s_waitcnt lgkmcnt(0)
	v_mov_b32_e32 v18, s15
	s_mul_i32 s0, s0, s6
	v_add_u32_e32 v3, s0, v0
	v_lshlrev_b64 v[1:2], 3, v[3:4]
	v_add_u32_e32 v3, 0x100, v3
	v_add_co_u32_e32 v1, vcc, s14, v1
	v_lshlrev_b64 v[3:4], 3, v[3:4]
	v_addc_co_u32_e32 v2, vcc, v18, v2, vcc
	v_add_co_u32_e32 v3, vcc, s14, v3
	global_load_dwordx2 v[5:6], v13, s[8:9]
	global_load_dwordx2 v[7:8], v13, s[8:9] offset:2048
	global_load_dwordx2 v[9:10], v13, s[10:11]
	global_load_dwordx2 v[11:12], v13, s[12:13]
	global_load_dwordx2 v[14:15], v13, s[10:11] offset:2048
	global_load_dwordx2 v[16:17], v13, s[12:13] offset:2048
	v_addc_co_u32_e32 v4, vcc, v18, v4, vcc
	global_load_dwordx2 v[20:21], v[1:2], off
	global_load_dwordx2 v[22:23], v[3:4], off
	s_movk_i32 s0, 0x100
	v_cmp_gt_u32_e64 s[0:1], s0, v0
	s_waitcnt vmcnt(6)
	ds_write2st64_b64 v13, v[5:6], v[7:8] offset1:4
	s_waitcnt vmcnt(3)
	ds_write2st64_b64 v13, v[9:10], v[14:15] offset0:8 offset1:12
	s_waitcnt vmcnt(2)
	ds_write2st64_b64 v13, v[11:12], v[16:17] offset0:16 offset1:20
	;; [unrolled: 2-line block ×3, first 2 shown]
	s_waitcnt lgkmcnt(0)
	s_barrier
	s_and_saveexec_b64 s[4:5], s[0:1]
	s_cbranch_execz .LBB33_2
; %bb.1:
	v_lshlrev_b32_e32 v18, 4, v19
	v_add_u32_e32 v5, -16, v18
	ds_read_b128 v[5:8], v5
	ds_read_b128 v[9:12], v18 offset:4080
	v_lshlrev_b32_e32 v14, 1, v19
	v_min_u32_e32 v24, 0x1ff, v14
	v_lshlrev_b32_e32 v44, 3, v24
	ds_read_b128 v[14:17], v18 offset:8176
	ds_read_b128 v[20:23], v18 offset:16368
	s_waitcnt lgkmcnt(2)
	v_div_scale_f64 v[28:29], s[2:3], v[9:10], v[9:10], v[7:8]
	ds_read2st64_b64 v[24:27], v44 offset1:8
	s_waitcnt lgkmcnt(0)
	v_div_scale_f64 v[30:31], s[2:3], v[26:27], v[26:27], v[16:17]
	v_div_scale_f64 v[40:41], s[2:3], v[16:17], v[26:27], v[16:17]
	v_rcp_f64_e32 v[32:33], v[28:29]
	v_rcp_f64_e32 v[34:35], v[30:31]
	v_fma_f64 v[36:37], -v[28:29], v[32:33], 1.0
	v_fma_f64 v[38:39], -v[30:31], v[34:35], 1.0
	v_fma_f64 v[32:33], v[32:33], v[36:37], v[32:33]
	v_div_scale_f64 v[36:37], vcc, v[7:8], v[9:10], v[7:8]
	v_fma_f64 v[34:35], v[34:35], v[38:39], v[34:35]
	v_fma_f64 v[38:39], -v[28:29], v[32:33], 1.0
	v_fma_f64 v[42:43], -v[30:31], v[34:35], 1.0
	v_fma_f64 v[32:33], v[32:33], v[38:39], v[32:33]
	v_fma_f64 v[34:35], v[34:35], v[42:43], v[34:35]
	v_mul_f64 v[38:39], v[36:37], v[32:33]
	v_mul_f64 v[42:43], v[40:41], v[34:35]
	v_fma_f64 v[28:29], -v[28:29], v[38:39], v[36:37]
	v_fma_f64 v[30:31], -v[30:31], v[42:43], v[40:41]
	v_div_fmas_f64 v[28:29], v[28:29], v[32:33], v[38:39]
	s_mov_b64 vcc, s[2:3]
	v_div_fmas_f64 v[30:31], v[30:31], v[34:35], v[42:43]
	v_div_fixup_f64 v[28:29], v[28:29], v[9:10], v[7:8]
	ds_read2st64_b64 v[7:10], v44 offset0:16 offset1:32
	v_div_fixup_f64 v[16:17], v[30:31], v[26:27], v[16:17]
	v_fma_f64 v[20:21], -v[28:29], v[20:21], v[22:23]
	v_fma_f64 v[11:12], -v[28:29], v[14:15], v[11:12]
	v_mul_f64 v[5:6], v[28:29], -v[5:6]
	v_add_u32_e32 v14, -8, v18
	v_add_u32_e32 v15, 0x1f8, v18
	s_waitcnt lgkmcnt(0)
	v_mul_f64 v[7:8], v[16:17], -v[7:8]
	v_fma_f64 v[9:10], -v[16:17], v[9:10], v[20:21]
	v_fma_f64 v[11:12], -v[16:17], v[24:25], v[11:12]
	ds_write_b64 v14, v[5:6]
	ds_write_b64 v18, v[9:10] offset:16376
	ds_write2st64_b64 v15, v[11:12], v[7:8] offset0:7 offset1:15
.LBB33_2:
	s_or_b64 exec, exec, s[4:5]
	s_movk_i32 s2, 0x80
	v_cmp_gt_u32_e64 s[2:3], s2, v0
	s_waitcnt lgkmcnt(0)
	s_barrier
	s_and_saveexec_b64 s[6:7], s[2:3]
	s_cbranch_execz .LBB33_4
; %bb.3:
	v_lshlrev_b32_e32 v18, 5, v19
	v_add_u32_e32 v40, -8, v18
	v_add_u32_e32 v5, 0x800, v18
	ds_read_b64 v[20:21], v40
	ds_read2_b64 v[5:8], v5 offset0:253 offset1:255
	v_lshl_or_b32 v9, v19, 2, 1
	v_min_u32_e32 v14, 0x1ff, v9
	v_subrev_u32_e32 v9, 24, v18
	ds_read_b64 v[24:25], v9
	s_waitcnt lgkmcnt(1)
	v_div_scale_f64 v[22:23], s[4:5], v[5:6], v[5:6], v[20:21]
	v_add_u32_e32 v9, 0x1800, v18
	v_lshlrev_b32_e32 v41, 3, v14
	ds_read2_b64 v[9:12], v9 offset0:253 offset1:255
	ds_read2st64_b64 v[14:17], v41 offset1:8
	s_waitcnt lgkmcnt(0)
	v_div_scale_f64 v[26:27], s[4:5], v[16:17], v[16:17], v[11:12]
	v_div_scale_f64 v[36:37], s[4:5], v[11:12], v[16:17], v[11:12]
	v_rcp_f64_e32 v[28:29], v[22:23]
	v_rcp_f64_e32 v[30:31], v[26:27]
	v_fma_f64 v[32:33], -v[22:23], v[28:29], 1.0
	v_fma_f64 v[28:29], v[28:29], v[32:33], v[28:29]
	v_div_scale_f64 v[32:33], vcc, v[20:21], v[5:6], v[20:21]
	v_fma_f64 v[34:35], -v[26:27], v[30:31], 1.0
	v_fma_f64 v[30:31], v[30:31], v[34:35], v[30:31]
	v_fma_f64 v[34:35], -v[22:23], v[28:29], 1.0
	v_fma_f64 v[38:39], -v[26:27], v[30:31], 1.0
	v_fma_f64 v[28:29], v[28:29], v[34:35], v[28:29]
	v_fma_f64 v[30:31], v[30:31], v[38:39], v[30:31]
	v_mul_f64 v[34:35], v[32:33], v[28:29]
	v_mul_f64 v[38:39], v[36:37], v[30:31]
	v_fma_f64 v[22:23], -v[22:23], v[34:35], v[32:33]
	v_fma_f64 v[26:27], -v[26:27], v[38:39], v[36:37]
	v_div_fmas_f64 v[22:23], v[22:23], v[28:29], v[34:35]
	s_mov_b64 vcc, s[4:5]
	v_div_fmas_f64 v[26:27], v[26:27], v[30:31], v[38:39]
	v_div_fixup_f64 v[28:29], v[22:23], v[5:6], v[20:21]
	v_add_u32_e32 v5, 0x3800, v18
	ds_read2_b64 v[20:23], v5 offset0:253 offset1:255
	v_div_fixup_f64 v[11:12], v[26:27], v[16:17], v[11:12]
	s_waitcnt lgkmcnt(0)
	v_fma_f64 v[16:17], -v[28:29], v[20:21], v[22:23]
	v_fma_f64 v[9:10], -v[28:29], v[9:10], v[7:8]
	ds_read2st64_b64 v[5:8], v41 offset0:16 offset1:32
	v_mul_f64 v[20:21], v[28:29], -v[24:25]
	s_waitcnt lgkmcnt(0)
	v_mul_f64 v[5:6], v[11:12], -v[5:6]
	v_fma_f64 v[7:8], -v[11:12], v[7:8], v[16:17]
	v_fma_f64 v[9:10], -v[11:12], v[14:15], v[9:10]
	v_add_u32_e32 v11, 0x1f8, v18
	ds_write_b64 v40, v[20:21]
	ds_write_b64 v18, v[7:8] offset:16376
	ds_write2st64_b64 v11, v[9:10], v[5:6] offset0:7 offset1:15
.LBB33_4:
	s_or_b64 exec, exec, s[6:7]
	v_cmp_gt_u32_e64 s[4:5], 64, v0
	v_lshlrev_b32_e32 v14, 6, v19
	s_waitcnt lgkmcnt(0)
	s_barrier
	s_and_saveexec_b64 s[8:9], s[4:5]
	s_cbranch_execz .LBB33_6
; %bb.5:
	v_add_u32_e32 v40, -8, v14
	v_add_u32_e32 v5, 0x800, v14
	ds_read_b64 v[20:21], v40
	ds_read2_b64 v[5:8], v5 offset0:251 offset1:255
	v_lshl_or_b32 v9, v19, 3, 3
	v_min_u32_e32 v15, 0x1ff, v9
	v_subrev_u32_e32 v9, 40, v14
	ds_read_b64 v[24:25], v9
	s_waitcnt lgkmcnt(1)
	v_div_scale_f64 v[22:23], s[6:7], v[5:6], v[5:6], v[20:21]
	v_add_u32_e32 v9, 0x1800, v14
	v_lshlrev_b32_e32 v41, 3, v15
	ds_read2_b64 v[9:12], v9 offset0:251 offset1:255
	ds_read2st64_b64 v[15:18], v41 offset1:8
	s_waitcnt lgkmcnt(0)
	v_div_scale_f64 v[26:27], s[6:7], v[17:18], v[17:18], v[11:12]
	v_div_scale_f64 v[36:37], s[6:7], v[11:12], v[17:18], v[11:12]
	v_rcp_f64_e32 v[28:29], v[22:23]
	v_rcp_f64_e32 v[30:31], v[26:27]
	v_fma_f64 v[32:33], -v[22:23], v[28:29], 1.0
	v_fma_f64 v[28:29], v[28:29], v[32:33], v[28:29]
	v_div_scale_f64 v[32:33], vcc, v[20:21], v[5:6], v[20:21]
	v_fma_f64 v[34:35], -v[26:27], v[30:31], 1.0
	v_fma_f64 v[30:31], v[30:31], v[34:35], v[30:31]
	v_fma_f64 v[34:35], -v[22:23], v[28:29], 1.0
	v_fma_f64 v[38:39], -v[26:27], v[30:31], 1.0
	v_fma_f64 v[28:29], v[28:29], v[34:35], v[28:29]
	v_fma_f64 v[30:31], v[30:31], v[38:39], v[30:31]
	v_mul_f64 v[34:35], v[32:33], v[28:29]
	v_mul_f64 v[38:39], v[36:37], v[30:31]
	v_fma_f64 v[22:23], -v[22:23], v[34:35], v[32:33]
	v_fma_f64 v[26:27], -v[26:27], v[38:39], v[36:37]
	v_div_fmas_f64 v[22:23], v[22:23], v[28:29], v[34:35]
	s_mov_b64 vcc, s[6:7]
	v_div_fmas_f64 v[26:27], v[26:27], v[30:31], v[38:39]
	v_div_fixup_f64 v[28:29], v[22:23], v[5:6], v[20:21]
	v_add_u32_e32 v5, 0x3800, v14
	ds_read2_b64 v[20:23], v5 offset0:251 offset1:255
	v_div_fixup_f64 v[11:12], v[26:27], v[17:18], v[11:12]
	s_waitcnt lgkmcnt(0)
	v_fma_f64 v[17:18], -v[28:29], v[20:21], v[22:23]
	v_fma_f64 v[9:10], -v[28:29], v[9:10], v[7:8]
	ds_read2st64_b64 v[5:8], v41 offset0:16 offset1:32
	v_mul_f64 v[20:21], v[28:29], -v[24:25]
	s_waitcnt lgkmcnt(0)
	v_mul_f64 v[5:6], v[11:12], -v[5:6]
	v_fma_f64 v[7:8], -v[11:12], v[7:8], v[17:18]
	v_fma_f64 v[9:10], -v[11:12], v[15:16], v[9:10]
	v_add_u32_e32 v11, 0x1f8, v14
	ds_write_b64 v40, v[20:21]
	ds_write_b64 v14, v[7:8] offset:16376
	ds_write2st64_b64 v11, v[9:10], v[5:6] offset0:7 offset1:15
.LBB33_6:
	s_or_b64 exec, exec, s[8:9]
	s_waitcnt lgkmcnt(0)
	s_barrier
	s_and_saveexec_b64 s[6:7], s[4:5]
	s_cbranch_execz .LBB33_8
; %bb.7:
	v_add_u32_e32 v9, -8, v14
	v_add_u32_e32 v5, 0x1f8, v14
	ds_read2st64_b64 v[5:8], v5 offset0:7 offset1:15
	ds_read_b64 v[9:10], v9
	ds_read_b64 v[11:12], v14 offset:16376
	s_waitcnt lgkmcnt(1)
	ds_write2st64_b64 v13, v[9:10], v[5:6] offset0:40 offset1:41
	s_waitcnt lgkmcnt(1)
	ds_write2st64_b64 v13, v[7:8], v[11:12] offset0:42 offset1:44
.LBB33_8:
	s_or_b64 exec, exec, s[6:7]
	v_or_b32_e32 v16, 0x5000, v13
	v_add_u32_e32 v18, 0x5400, v13
	v_add_u32_e32 v17, 0x5200, v13
	v_or_b32_e32 v15, 0x5800, v13
	s_waitcnt lgkmcnt(0)
	s_barrier
                                        ; implicit-def: $vgpr9_vgpr10
                                        ; implicit-def: $vgpr11_vgpr12
                                        ; implicit-def: $vgpr7_vgpr8
                                        ; implicit-def: $vgpr5_vgpr6
	s_and_saveexec_b64 s[8:9], s[4:5]
	s_cbranch_execz .LBB33_10
; %bb.9:
	v_sub_u32_e64 v5, v0, 1 clamp
	v_lshlrev_b32_e32 v43, 3, v5
	v_min_u32_e32 v9, 63, v19
	ds_read2st64_b64 v[5:8], v43 offset0:40 offset1:41
	ds_read_b64 v[19:20], v16
	ds_read_b64 v[23:24], v18
	ds_read_b64 v[25:26], v17
	ds_read_b64 v[27:28], v15
	v_lshlrev_b32_e32 v44, 3, v9
	s_waitcnt lgkmcnt(3)
	v_div_scale_f64 v[21:22], s[6:7], v[7:8], v[7:8], v[19:20]
	ds_read2st64_b64 v[9:12], v44 offset0:40 offset1:41
	s_waitcnt lgkmcnt(0)
	v_div_scale_f64 v[29:30], s[6:7], v[11:12], v[11:12], v[23:24]
	v_div_scale_f64 v[39:40], s[6:7], v[23:24], v[11:12], v[23:24]
	v_rcp_f64_e32 v[31:32], v[21:22]
	v_rcp_f64_e32 v[33:34], v[29:30]
	v_fma_f64 v[35:36], -v[21:22], v[31:32], 1.0
	v_fma_f64 v[37:38], -v[29:30], v[33:34], 1.0
	v_fma_f64 v[31:32], v[31:32], v[35:36], v[31:32]
	v_div_scale_f64 v[35:36], vcc, v[19:20], v[7:8], v[19:20]
	v_fma_f64 v[33:34], v[33:34], v[37:38], v[33:34]
	v_fma_f64 v[37:38], -v[21:22], v[31:32], 1.0
	v_fma_f64 v[41:42], -v[29:30], v[33:34], 1.0
	v_fma_f64 v[31:32], v[31:32], v[37:38], v[31:32]
	v_fma_f64 v[33:34], v[33:34], v[41:42], v[33:34]
	v_mul_f64 v[37:38], v[35:36], v[31:32]
	v_mul_f64 v[41:42], v[39:40], v[33:34]
	v_fma_f64 v[21:22], -v[21:22], v[37:38], v[35:36]
	v_fma_f64 v[29:30], -v[29:30], v[41:42], v[39:40]
	v_div_fmas_f64 v[21:22], v[21:22], v[31:32], v[37:38]
	s_mov_b64 vcc, s[6:7]
	v_div_fmas_f64 v[29:30], v[29:30], v[33:34], v[41:42]
	v_div_fixup_f64 v[7:8], v[21:22], v[7:8], v[19:20]
	ds_read2st64_b64 v[19:22], v43 offset0:42 offset1:44
	v_div_fixup_f64 v[11:12], v[29:30], v[11:12], v[23:24]
	s_waitcnt lgkmcnt(0)
	v_fma_f64 v[23:24], -v[7:8], v[19:20], v[25:26]
	v_fma_f64 v[25:26], -v[7:8], v[21:22], v[27:28]
	ds_read2st64_b64 v[19:22], v44 offset0:42 offset1:44
	v_mul_f64 v[5:6], v[7:8], -v[5:6]
	v_fma_f64 v[7:8], -v[11:12], v[9:10], v[23:24]
	s_waitcnt lgkmcnt(0)
	v_fma_f64 v[9:10], -v[11:12], v[21:22], v[25:26]
	v_mul_f64 v[11:12], v[11:12], -v[19:20]
.LBB33_10:
	s_or_b64 exec, exec, s[8:9]
	s_barrier
	s_and_saveexec_b64 s[6:7], s[4:5]
	s_cbranch_execz .LBB33_12
; %bb.11:
	ds_write_b64 v17, v[7:8]
	ds_write_b64 v15, v[9:10]
	ds_write_b64 v16, v[5:6]
	ds_write_b64 v18, v[11:12]
.LBB33_12:
	s_or_b64 exec, exec, s[6:7]
	s_waitcnt lgkmcnt(0)
	s_barrier
	s_and_saveexec_b64 s[8:9], s[4:5]
	s_cbranch_execz .LBB33_14
; %bb.13:
	v_sub_u32_e64 v5, v0, 2 clamp
	v_lshlrev_b32_e32 v43, 3, v5
	ds_read2st64_b64 v[5:8], v43 offset0:40 offset1:41
	ds_read_b64 v[19:20], v16
	ds_read_b64 v[23:24], v18
	ds_read_b64 v[25:26], v17
	ds_read_b64 v[27:28], v15
	v_min_u32_e32 v9, 61, v0
	s_waitcnt lgkmcnt(3)
	v_div_scale_f64 v[21:22], s[6:7], v[7:8], v[7:8], v[19:20]
	v_lshlrev_b32_e32 v9, 3, v9
	v_add_u32_e32 v44, 16, v9
	ds_read2st64_b64 v[9:12], v44 offset0:40 offset1:41
	s_waitcnt lgkmcnt(0)
	v_div_scale_f64 v[29:30], s[6:7], v[11:12], v[11:12], v[23:24]
	v_div_scale_f64 v[39:40], s[6:7], v[23:24], v[11:12], v[23:24]
	v_rcp_f64_e32 v[31:32], v[21:22]
	v_rcp_f64_e32 v[33:34], v[29:30]
	v_fma_f64 v[35:36], -v[21:22], v[31:32], 1.0
	v_fma_f64 v[31:32], v[31:32], v[35:36], v[31:32]
	v_fma_f64 v[37:38], -v[29:30], v[33:34], 1.0
	v_div_scale_f64 v[35:36], vcc, v[19:20], v[7:8], v[19:20]
	v_fma_f64 v[33:34], v[33:34], v[37:38], v[33:34]
	v_fma_f64 v[37:38], -v[21:22], v[31:32], 1.0
	v_fma_f64 v[41:42], -v[29:30], v[33:34], 1.0
	v_fma_f64 v[31:32], v[31:32], v[37:38], v[31:32]
	v_fma_f64 v[33:34], v[33:34], v[41:42], v[33:34]
	v_mul_f64 v[37:38], v[35:36], v[31:32]
	v_mul_f64 v[41:42], v[39:40], v[33:34]
	v_fma_f64 v[21:22], -v[21:22], v[37:38], v[35:36]
	v_fma_f64 v[29:30], -v[29:30], v[41:42], v[39:40]
	v_div_fmas_f64 v[21:22], v[21:22], v[31:32], v[37:38]
	s_mov_b64 vcc, s[6:7]
	v_div_fmas_f64 v[29:30], v[29:30], v[33:34], v[41:42]
	v_div_fixup_f64 v[7:8], v[21:22], v[7:8], v[19:20]
	ds_read2st64_b64 v[19:22], v43 offset0:42 offset1:44
	v_div_fixup_f64 v[11:12], v[29:30], v[11:12], v[23:24]
	s_waitcnt lgkmcnt(0)
	v_fma_f64 v[23:24], -v[7:8], v[19:20], v[25:26]
	v_fma_f64 v[25:26], -v[7:8], v[21:22], v[27:28]
	ds_read2st64_b64 v[19:22], v44 offset0:42 offset1:44
	v_mul_f64 v[5:6], v[7:8], -v[5:6]
	v_fma_f64 v[7:8], -v[11:12], v[9:10], v[23:24]
	s_waitcnt lgkmcnt(0)
	v_fma_f64 v[9:10], -v[11:12], v[21:22], v[25:26]
	v_mul_f64 v[11:12], v[11:12], -v[19:20]
.LBB33_14:
	s_or_b64 exec, exec, s[8:9]
	s_barrier
	s_and_saveexec_b64 s[6:7], s[4:5]
	s_cbranch_execz .LBB33_16
; %bb.15:
	ds_write_b64 v17, v[7:8]
	ds_write_b64 v15, v[9:10]
	ds_write_b64 v16, v[5:6]
	ds_write_b64 v18, v[11:12]
.LBB33_16:
	s_or_b64 exec, exec, s[6:7]
	s_waitcnt lgkmcnt(0)
	s_barrier
	s_and_saveexec_b64 s[8:9], s[4:5]
	s_cbranch_execz .LBB33_18
; %bb.17:
	v_sub_u32_e64 v5, v0, 4 clamp
	v_lshlrev_b32_e32 v43, 3, v5
	ds_read2st64_b64 v[5:8], v43 offset0:40 offset1:41
	ds_read_b64 v[19:20], v16
	ds_read_b64 v[23:24], v18
	ds_read_b64 v[25:26], v17
	ds_read_b64 v[27:28], v15
	v_min_u32_e32 v9, 59, v0
	s_waitcnt lgkmcnt(3)
	v_div_scale_f64 v[21:22], s[6:7], v[7:8], v[7:8], v[19:20]
	v_lshlrev_b32_e32 v9, 3, v9
	v_add_u32_e32 v44, 32, v9
	ds_read2st64_b64 v[9:12], v44 offset0:40 offset1:41
	s_waitcnt lgkmcnt(0)
	v_div_scale_f64 v[29:30], s[6:7], v[11:12], v[11:12], v[23:24]
	v_div_scale_f64 v[39:40], s[6:7], v[23:24], v[11:12], v[23:24]
	v_rcp_f64_e32 v[31:32], v[21:22]
	v_rcp_f64_e32 v[33:34], v[29:30]
	v_fma_f64 v[35:36], -v[21:22], v[31:32], 1.0
	v_fma_f64 v[31:32], v[31:32], v[35:36], v[31:32]
	v_fma_f64 v[37:38], -v[29:30], v[33:34], 1.0
	v_div_scale_f64 v[35:36], vcc, v[19:20], v[7:8], v[19:20]
	v_fma_f64 v[33:34], v[33:34], v[37:38], v[33:34]
	v_fma_f64 v[37:38], -v[21:22], v[31:32], 1.0
	v_fma_f64 v[41:42], -v[29:30], v[33:34], 1.0
	v_fma_f64 v[31:32], v[31:32], v[37:38], v[31:32]
	v_fma_f64 v[33:34], v[33:34], v[41:42], v[33:34]
	v_mul_f64 v[37:38], v[35:36], v[31:32]
	v_mul_f64 v[41:42], v[39:40], v[33:34]
	v_fma_f64 v[21:22], -v[21:22], v[37:38], v[35:36]
	v_fma_f64 v[29:30], -v[29:30], v[41:42], v[39:40]
	v_div_fmas_f64 v[21:22], v[21:22], v[31:32], v[37:38]
	s_mov_b64 vcc, s[6:7]
	v_div_fmas_f64 v[29:30], v[29:30], v[33:34], v[41:42]
	v_div_fixup_f64 v[7:8], v[21:22], v[7:8], v[19:20]
	ds_read2st64_b64 v[19:22], v43 offset0:42 offset1:44
	v_div_fixup_f64 v[11:12], v[29:30], v[11:12], v[23:24]
	s_waitcnt lgkmcnt(0)
	v_fma_f64 v[23:24], -v[7:8], v[19:20], v[25:26]
	v_fma_f64 v[25:26], -v[7:8], v[21:22], v[27:28]
	ds_read2st64_b64 v[19:22], v44 offset0:42 offset1:44
	v_mul_f64 v[5:6], v[7:8], -v[5:6]
	v_fma_f64 v[7:8], -v[11:12], v[9:10], v[23:24]
	s_waitcnt lgkmcnt(0)
	v_fma_f64 v[9:10], -v[11:12], v[21:22], v[25:26]
	v_mul_f64 v[11:12], v[11:12], -v[19:20]
.LBB33_18:
	;; [unrolled: 63-line block ×4, first 2 shown]
	s_or_b64 exec, exec, s[8:9]
	s_barrier
	s_and_saveexec_b64 s[6:7], s[4:5]
	s_cbranch_execz .LBB33_28
; %bb.27:
	ds_write_b64 v17, v[7:8]
	ds_write_b64 v15, v[9:10]
	;; [unrolled: 1-line block ×4, first 2 shown]
.LBB33_28:
	s_or_b64 exec, exec, s[6:7]
	v_cmp_gt_u32_e32 vcc, 32, v0
	s_waitcnt lgkmcnt(0)
	s_barrier
	s_and_saveexec_b64 s[6:7], vcc
	s_cbranch_execz .LBB33_30
; %bb.29:
	ds_read_b64 v[18:19], v18
	ds_read_b64 v[20:21], v16 offset:256
	ds_read2_b64 v[5:8], v17 offset1:32
	s_waitcnt lgkmcnt(1)
	v_mul_f64 v[9:10], v[18:19], v[20:21]
	s_waitcnt lgkmcnt(0)
	v_fma_f64 v[16:17], v[7:8], v[5:6], -v[9:10]
	v_div_scale_f64 v[9:10], s[8:9], v[16:17], v[16:17], 1.0
	v_rcp_f64_e32 v[11:12], v[9:10]
	v_fma_f64 v[22:23], -v[9:10], v[11:12], 1.0
	v_fma_f64 v[11:12], v[11:12], v[22:23], v[11:12]
	v_div_scale_f64 v[22:23], vcc, 1.0, v[16:17], 1.0
	v_fma_f64 v[24:25], -v[9:10], v[11:12], 1.0
	v_fma_f64 v[11:12], v[11:12], v[24:25], v[11:12]
	v_mul_f64 v[24:25], v[22:23], v[11:12]
	v_fma_f64 v[9:10], -v[9:10], v[24:25], v[22:23]
	v_div_fmas_f64 v[22:23], v[9:10], v[11:12], v[24:25]
	ds_read2_b64 v[9:12], v15 offset1:32
	s_waitcnt lgkmcnt(0)
	v_mul_f64 v[18:19], v[18:19], v[11:12]
	v_mul_f64 v[20:21], v[20:21], v[9:10]
	v_fma_f64 v[7:8], v[7:8], v[9:10], -v[18:19]
	v_fma_f64 v[5:6], v[5:6], v[11:12], -v[20:21]
	v_div_fixup_f64 v[9:10], v[22:23], v[16:17], 1.0
	v_mul_f64 v[7:8], v[9:10], v[7:8]
	v_mul_f64 v[5:6], v[9:10], v[5:6]
	v_add_u32_e32 v9, 0x5000, v13
	ds_write2_b64 v9, v[7:8], v[5:6] offset0:192 offset1:224
.LBB33_30:
	s_or_b64 exec, exec, s[6:7]
	s_waitcnt lgkmcnt(0)
	s_barrier
	s_and_saveexec_b64 s[6:7], s[4:5]
	s_cbranch_execz .LBB33_32
; %bb.31:
	ds_read_b64 v[5:6], v13 offset:22016
	s_waitcnt lgkmcnt(0)
	ds_write_b64 v14, v[5:6] offset:12280
.LBB33_32:
	s_or_b64 exec, exec, s[6:7]
	s_waitcnt lgkmcnt(0)
	s_barrier
	s_and_saveexec_b64 s[6:7], s[4:5]
	s_cbranch_execz .LBB33_36
; %bb.33:
	v_lshlrev_b32_e32 v5, 6, v0
	ds_read_b64 v[5:6], v5 offset:16408
	v_cmp_ne_u32_e32 vcc, 0, v0
	v_lshlrev_b32_e32 v7, 3, v13
	s_and_saveexec_b64 s[4:5], vcc
	s_cbranch_execz .LBB33_35
; %bb.34:
	ds_read_b64 v[8:9], v7 offset:24
	ds_read_b64 v[10:11], v7 offset:12280
	s_waitcnt lgkmcnt(0)
	v_fma_f64 v[5:6], -v[8:9], v[10:11], v[5:6]
.LBB33_35:
	s_or_b64 exec, exec, s[4:5]
	v_add_u32_e32 v8, 24, v7
	ds_read_b64 v[14:15], v7 offset:12344
	ds_read2st64_b64 v[8:11], v8 offset0:8 offset1:16
	s_waitcnt lgkmcnt(0)
	v_fma_f64 v[5:6], -v[10:11], v[14:15], v[5:6]
	v_div_scale_f64 v[10:11], s[4:5], v[8:9], v[8:9], v[5:6]
	v_div_scale_f64 v[18:19], vcc, v[5:6], v[8:9], v[5:6]
	v_rcp_f64_e32 v[14:15], v[10:11]
	v_fma_f64 v[16:17], -v[10:11], v[14:15], 1.0
	v_fma_f64 v[14:15], v[14:15], v[16:17], v[14:15]
	v_fma_f64 v[16:17], -v[10:11], v[14:15], 1.0
	v_fma_f64 v[14:15], v[14:15], v[16:17], v[14:15]
	v_mul_f64 v[16:17], v[18:19], v[14:15]
	v_fma_f64 v[10:11], -v[10:11], v[16:17], v[18:19]
	v_div_fmas_f64 v[10:11], v[10:11], v[14:15], v[16:17]
	v_div_fixup_f64 v[5:6], v[10:11], v[8:9], v[5:6]
	ds_write_b64 v7, v[5:6] offset:12312
.LBB33_36:
	s_or_b64 exec, exec, s[6:7]
	s_waitcnt lgkmcnt(0)
	s_barrier
	s_and_saveexec_b64 s[4:5], s[2:3]
	s_cbranch_execz .LBB33_40
; %bb.37:
	v_lshlrev_b32_e32 v5, 5, v0
	ds_read_b64 v[5:6], v5 offset:16392
	v_lshlrev_b32_e32 v7, 2, v0
	v_cmp_ne_u32_e32 vcc, 0, v0
	v_lshlrev_b32_e32 v7, 3, v7
	s_and_saveexec_b64 s[2:3], vcc
	s_cbranch_execz .LBB33_39
; %bb.38:
	ds_read_b64 v[8:9], v7 offset:8
	ds_read_b64 v[10:11], v7 offset:12280
	s_waitcnt lgkmcnt(0)
	v_fma_f64 v[5:6], -v[8:9], v[10:11], v[5:6]
.LBB33_39:
	s_or_b64 exec, exec, s[2:3]
	v_add_u32_e32 v8, 8, v7
	ds_read_b64 v[14:15], v7 offset:12312
	ds_read2st64_b64 v[8:11], v8 offset0:8 offset1:16
	s_waitcnt lgkmcnt(0)
	v_fma_f64 v[5:6], -v[10:11], v[14:15], v[5:6]
	v_div_scale_f64 v[10:11], s[2:3], v[8:9], v[8:9], v[5:6]
	v_div_scale_f64 v[18:19], vcc, v[5:6], v[8:9], v[5:6]
	v_rcp_f64_e32 v[14:15], v[10:11]
	v_fma_f64 v[16:17], -v[10:11], v[14:15], 1.0
	v_fma_f64 v[14:15], v[14:15], v[16:17], v[14:15]
	v_fma_f64 v[16:17], -v[10:11], v[14:15], 1.0
	v_fma_f64 v[14:15], v[14:15], v[16:17], v[14:15]
	v_mul_f64 v[16:17], v[18:19], v[14:15]
	v_fma_f64 v[10:11], -v[10:11], v[16:17], v[18:19]
	v_div_fmas_f64 v[10:11], v[10:11], v[14:15], v[16:17]
	v_div_fixup_f64 v[5:6], v[10:11], v[8:9], v[5:6]
	ds_write_b64 v7, v[5:6] offset:12296
.LBB33_40:
	s_or_b64 exec, exec, s[4:5]
	s_waitcnt lgkmcnt(0)
	s_barrier
	s_and_saveexec_b64 s[2:3], s[0:1]
	s_cbranch_execz .LBB33_44
; %bb.41:
	v_lshlrev_b32_e32 v5, 4, v0
	ds_read_b64 v[5:6], v5 offset:16384
	v_lshlrev_b32_e32 v7, 1, v0
	v_cmp_ne_u32_e32 vcc, 0, v0
	v_lshlrev_b32_e32 v0, 3, v7
	s_and_saveexec_b64 s[0:1], vcc
	s_cbranch_execz .LBB33_43
; %bb.42:
	ds_read_b64 v[7:8], v0
	ds_read_b64 v[9:10], v0 offset:12280
	s_waitcnt lgkmcnt(0)
	v_fma_f64 v[5:6], -v[7:8], v[9:10], v[5:6]
.LBB33_43:
	s_or_b64 exec, exec, s[0:1]
	ds_read2st64_b64 v[7:10], v0 offset0:8 offset1:16
	ds_read_b64 v[11:12], v0 offset:12296
	s_waitcnt lgkmcnt(0)
	v_fma_f64 v[5:6], -v[9:10], v[11:12], v[5:6]
	v_div_scale_f64 v[9:10], s[0:1], v[7:8], v[7:8], v[5:6]
	v_div_scale_f64 v[16:17], vcc, v[5:6], v[7:8], v[5:6]
	v_rcp_f64_e32 v[11:12], v[9:10]
	v_fma_f64 v[14:15], -v[9:10], v[11:12], 1.0
	v_fma_f64 v[11:12], v[11:12], v[14:15], v[11:12]
	v_fma_f64 v[14:15], -v[9:10], v[11:12], 1.0
	v_fma_f64 v[11:12], v[11:12], v[14:15], v[11:12]
	v_mul_f64 v[14:15], v[16:17], v[11:12]
	v_fma_f64 v[9:10], -v[9:10], v[14:15], v[16:17]
	v_div_fmas_f64 v[9:10], v[9:10], v[11:12], v[14:15]
	v_div_fixup_f64 v[5:6], v[9:10], v[7:8], v[5:6]
	ds_write_b64 v0, v[5:6] offset:12288
.LBB33_44:
	s_or_b64 exec, exec, s[2:3]
	s_waitcnt lgkmcnt(0)
	s_barrier
	ds_read2st64_b64 v[5:8], v13 offset0:24 offset1:28
	s_waitcnt lgkmcnt(0)
	global_store_dwordx2 v[1:2], v[5:6], off
	global_store_dwordx2 v[3:4], v[7:8], off
	s_endpgm
	.section	.rodata,"a",@progbits
	.p2align	6, 0x0
	.amdhsa_kernel _ZN9rocsparseL37gtsv_nopivot_crpcr_pow2_shared_kernelILj256ELj64EdEEviiiPKT1_S3_S3_PS1_
		.amdhsa_group_segment_fixed_size 23040
		.amdhsa_private_segment_fixed_size 0
		.amdhsa_kernarg_size 48
		.amdhsa_user_sgpr_count 6
		.amdhsa_user_sgpr_private_segment_buffer 1
		.amdhsa_user_sgpr_dispatch_ptr 0
		.amdhsa_user_sgpr_queue_ptr 0
		.amdhsa_user_sgpr_kernarg_segment_ptr 1
		.amdhsa_user_sgpr_dispatch_id 0
		.amdhsa_user_sgpr_flat_scratch_init 0
		.amdhsa_user_sgpr_private_segment_size 0
		.amdhsa_uses_dynamic_stack 0
		.amdhsa_system_sgpr_private_segment_wavefront_offset 0
		.amdhsa_system_sgpr_workgroup_id_x 1
		.amdhsa_system_sgpr_workgroup_id_y 0
		.amdhsa_system_sgpr_workgroup_id_z 0
		.amdhsa_system_sgpr_workgroup_info 0
		.amdhsa_system_vgpr_workitem_id 0
		.amdhsa_next_free_vgpr 85
		.amdhsa_next_free_sgpr 98
		.amdhsa_reserve_vcc 1
		.amdhsa_reserve_flat_scratch 0
		.amdhsa_float_round_mode_32 0
		.amdhsa_float_round_mode_16_64 0
		.amdhsa_float_denorm_mode_32 3
		.amdhsa_float_denorm_mode_16_64 3
		.amdhsa_dx10_clamp 1
		.amdhsa_ieee_mode 1
		.amdhsa_fp16_overflow 0
		.amdhsa_exception_fp_ieee_invalid_op 0
		.amdhsa_exception_fp_denorm_src 0
		.amdhsa_exception_fp_ieee_div_zero 0
		.amdhsa_exception_fp_ieee_overflow 0
		.amdhsa_exception_fp_ieee_underflow 0
		.amdhsa_exception_fp_ieee_inexact 0
		.amdhsa_exception_int_div_zero 0
	.end_amdhsa_kernel
	.section	.text._ZN9rocsparseL37gtsv_nopivot_crpcr_pow2_shared_kernelILj256ELj64EdEEviiiPKT1_S3_S3_PS1_,"axG",@progbits,_ZN9rocsparseL37gtsv_nopivot_crpcr_pow2_shared_kernelILj256ELj64EdEEviiiPKT1_S3_S3_PS1_,comdat
.Lfunc_end33:
	.size	_ZN9rocsparseL37gtsv_nopivot_crpcr_pow2_shared_kernelILj256ELj64EdEEviiiPKT1_S3_S3_PS1_, .Lfunc_end33-_ZN9rocsparseL37gtsv_nopivot_crpcr_pow2_shared_kernelILj256ELj64EdEEviiiPKT1_S3_S3_PS1_
                                        ; -- End function
	.set _ZN9rocsparseL37gtsv_nopivot_crpcr_pow2_shared_kernelILj256ELj64EdEEviiiPKT1_S3_S3_PS1_.num_vgpr, 45
	.set _ZN9rocsparseL37gtsv_nopivot_crpcr_pow2_shared_kernelILj256ELj64EdEEviiiPKT1_S3_S3_PS1_.num_agpr, 0
	.set _ZN9rocsparseL37gtsv_nopivot_crpcr_pow2_shared_kernelILj256ELj64EdEEviiiPKT1_S3_S3_PS1_.numbered_sgpr, 16
	.set _ZN9rocsparseL37gtsv_nopivot_crpcr_pow2_shared_kernelILj256ELj64EdEEviiiPKT1_S3_S3_PS1_.num_named_barrier, 0
	.set _ZN9rocsparseL37gtsv_nopivot_crpcr_pow2_shared_kernelILj256ELj64EdEEviiiPKT1_S3_S3_PS1_.private_seg_size, 0
	.set _ZN9rocsparseL37gtsv_nopivot_crpcr_pow2_shared_kernelILj256ELj64EdEEviiiPKT1_S3_S3_PS1_.uses_vcc, 1
	.set _ZN9rocsparseL37gtsv_nopivot_crpcr_pow2_shared_kernelILj256ELj64EdEEviiiPKT1_S3_S3_PS1_.uses_flat_scratch, 0
	.set _ZN9rocsparseL37gtsv_nopivot_crpcr_pow2_shared_kernelILj256ELj64EdEEviiiPKT1_S3_S3_PS1_.has_dyn_sized_stack, 0
	.set _ZN9rocsparseL37gtsv_nopivot_crpcr_pow2_shared_kernelILj256ELj64EdEEviiiPKT1_S3_S3_PS1_.has_recursion, 0
	.set _ZN9rocsparseL37gtsv_nopivot_crpcr_pow2_shared_kernelILj256ELj64EdEEviiiPKT1_S3_S3_PS1_.has_indirect_call, 0
	.section	.AMDGPU.csdata,"",@progbits
; Kernel info:
; codeLenInByte = 4388
; TotalNumSgprs: 20
; NumVgprs: 45
; ScratchSize: 0
; MemoryBound: 0
; FloatMode: 240
; IeeeMode: 1
; LDSByteSize: 23040 bytes/workgroup (compile time only)
; SGPRBlocks: 12
; VGPRBlocks: 21
; NumSGPRsForWavesPerEU: 102
; NumVGPRsForWavesPerEU: 85
; Occupancy: 2
; WaveLimiterHint : 1
; COMPUTE_PGM_RSRC2:SCRATCH_EN: 0
; COMPUTE_PGM_RSRC2:USER_SGPR: 6
; COMPUTE_PGM_RSRC2:TRAP_HANDLER: 0
; COMPUTE_PGM_RSRC2:TGID_X_EN: 1
; COMPUTE_PGM_RSRC2:TGID_Y_EN: 0
; COMPUTE_PGM_RSRC2:TGID_Z_EN: 0
; COMPUTE_PGM_RSRC2:TIDIG_COMP_CNT: 0
	.section	.text._ZN9rocsparseL30gtsv_nopivot_pcr_shared_kernelILj4EdEEviiiPKT0_S3_S3_PS1_,"axG",@progbits,_ZN9rocsparseL30gtsv_nopivot_pcr_shared_kernelILj4EdEEviiiPKT0_S3_S3_PS1_,comdat
	.globl	_ZN9rocsparseL30gtsv_nopivot_pcr_shared_kernelILj4EdEEviiiPKT0_S3_S3_PS1_ ; -- Begin function _ZN9rocsparseL30gtsv_nopivot_pcr_shared_kernelILj4EdEEviiiPKT0_S3_S3_PS1_
	.p2align	8
	.type	_ZN9rocsparseL30gtsv_nopivot_pcr_shared_kernelILj4EdEEviiiPKT0_S3_S3_PS1_,@function
_ZN9rocsparseL30gtsv_nopivot_pcr_shared_kernelILj4EdEEviiiPKT0_S3_S3_PS1_: ; @_ZN9rocsparseL30gtsv_nopivot_pcr_shared_kernelILj4EdEEviiiPKT0_S3_S3_PS1_
; %bb.0:
	s_load_dword s7, s[4:5], 0x0
	v_mov_b32_e32 v1, 0
	v_mov_b32_e32 v3, 0
	v_mov_b32_e32 v2, 0
	v_mov_b32_e32 v4, 0
	s_waitcnt lgkmcnt(0)
	v_cmp_gt_i32_e64 s[0:1], s7, v0
	v_lshlrev_b32_e32 v7, 3, v0
	s_and_saveexec_b64 s[2:3], s[0:1]
	s_cbranch_execz .LBB34_2
; %bb.1:
	s_load_dwordx2 s[8:9], s[4:5], 0x10
	s_waitcnt lgkmcnt(0)
	global_load_dwordx2 v[3:4], v7, s[8:9]
.LBB34_2:
	s_or_b64 exec, exec, s[2:3]
	s_waitcnt vmcnt(0)
	ds_write_b64 v7, v[3:4]
	s_and_saveexec_b64 s[2:3], s[0:1]
	s_cbranch_execz .LBB34_4
; %bb.3:
	s_load_dwordx2 s[8:9], s[4:5], 0x18
	s_waitcnt lgkmcnt(0)
	global_load_dwordx2 v[1:2], v7, s[8:9]
.LBB34_4:
	s_or_b64 exec, exec, s[2:3]
	s_load_dwordx2 s[2:3], s[4:5], 0x28
	v_mov_b32_e32 v3, 0
	v_mov_b32_e32 v5, 0
	;; [unrolled: 1-line block ×4, first 2 shown]
	s_waitcnt vmcnt(0)
	ds_write_b64 v7, v[1:2] offset:32
	s_and_saveexec_b64 s[8:9], s[0:1]
	s_cbranch_execz .LBB34_6
; %bb.5:
	s_load_dwordx2 s[10:11], s[4:5], 0x20
	s_waitcnt lgkmcnt(0)
	global_load_dwordx2 v[5:6], v7, s[10:11]
.LBB34_6:
	s_or_b64 exec, exec, s[8:9]
	s_load_dword s4, s[4:5], 0x8
	v_or_b32_e32 v8, 32, v7
	v_or_b32_e32 v9, 64, v7
	s_waitcnt vmcnt(0)
	ds_write_b64 v7, v[5:6] offset:64
	s_waitcnt lgkmcnt(0)
	s_mul_i32 s4, s4, s6
	v_add_u32_e32 v1, s4, v0
	s_and_saveexec_b64 s[4:5], s[0:1]
	s_cbranch_execz .LBB34_8
; %bb.7:
	v_mov_b32_e32 v2, 0
	v_lshlrev_b64 v[2:3], 3, v[1:2]
	v_mov_b32_e32 v4, s3
	v_add_co_u32_e32 v2, vcc, s2, v2
	v_addc_co_u32_e32 v3, vcc, v4, v3, vcc
	global_load_dwordx2 v[3:4], v[2:3], off
.LBB34_8:
	s_or_b64 exec, exec, s[4:5]
	s_add_i32 s4, s7, -1
	v_add_u32_e32 v2, 1, v0
	v_min_i32_e32 v6, s4, v2
	v_sub_u32_e64 v2, v0, 1 clamp
	v_lshlrev_b32_e32 v24, 3, v2
	s_waitcnt vmcnt(0)
	ds_write_b64 v7, v[3:4] offset:128
	s_waitcnt lgkmcnt(0)
	; wave barrier
	ds_read_b64 v[10:11], v7
	ds_read2_b64 v[2:5], v24 offset1:4
	v_lshlrev_b32_e32 v6, 3, v6
	s_waitcnt lgkmcnt(0)
	v_div_scale_f64 v[12:13], s[4:5], v[4:5], v[4:5], v[10:11]
	v_rcp_f64_e32 v[14:15], v[12:13]
	v_fma_f64 v[16:17], -v[12:13], v[14:15], 1.0
	v_fma_f64 v[14:15], v[14:15], v[16:17], v[14:15]
	v_fma_f64 v[16:17], -v[12:13], v[14:15], 1.0
	v_fma_f64 v[14:15], v[14:15], v[16:17], v[14:15]
	v_div_scale_f64 v[16:17], vcc, v[10:11], v[4:5], v[10:11]
	v_mul_f64 v[18:19], v[16:17], v[14:15]
	v_fma_f64 v[12:13], -v[12:13], v[18:19], v[16:17]
	s_nop 1
	v_div_fmas_f64 v[12:13], v[12:13], v[14:15], v[18:19]
	ds_read_b64 v[14:15], v9
	v_div_fixup_f64 v[4:5], v[12:13], v[4:5], v[10:11]
	ds_read2_b64 v[10:13], v6 offset1:4
	s_waitcnt lgkmcnt(0)
	v_div_scale_f64 v[16:17], s[4:5], v[12:13], v[12:13], v[14:15]
	v_mul_f64 v[2:3], v[4:5], -v[2:3]
	v_rcp_f64_e32 v[18:19], v[16:17]
	v_fma_f64 v[20:21], -v[16:17], v[18:19], 1.0
	v_fma_f64 v[18:19], v[18:19], v[20:21], v[18:19]
	v_fma_f64 v[20:21], -v[16:17], v[18:19], 1.0
	v_fma_f64 v[18:19], v[18:19], v[20:21], v[18:19]
	v_div_scale_f64 v[20:21], vcc, v[14:15], v[12:13], v[14:15]
	v_mul_f64 v[22:23], v[20:21], v[18:19]
	v_fma_f64 v[16:17], -v[16:17], v[22:23], v[20:21]
	s_nop 1
	v_div_fmas_f64 v[16:17], v[16:17], v[18:19], v[22:23]
	v_cmp_gt_u32_e32 vcc, 2, v0
	v_div_fixup_f64 v[16:17], v[16:17], v[12:13], v[14:15]
	ds_read_b64 v[18:19], v8
	ds_read2_b64 v[12:15], v24 offset0:8 offset1:16
	s_waitcnt lgkmcnt(0)
	v_fma_f64 v[12:13], -v[4:5], v[12:13], v[18:19]
	v_fma_f64 v[18:19], -v[16:17], v[10:11], v[12:13]
	ds_read_b64 v[10:11], v7 offset:128
	s_waitcnt lgkmcnt(0)
	v_fma_f64 v[14:15], -v[4:5], v[14:15], v[10:11]
	ds_read2_b64 v[10:13], v6 offset0:8 offset1:16
	s_waitcnt lgkmcnt(0)
	; wave barrier
	v_mul_f64 v[4:5], v[16:17], -v[10:11]
	v_fma_f64 v[12:13], -v[16:17], v[12:13], v[14:15]
	ds_write_b64 v8, v[18:19]
	ds_write_b64 v7, v[12:13] offset:128
	ds_write_b64 v7, v[2:3]
	ds_write_b64 v9, v[4:5]
	s_waitcnt lgkmcnt(0)
	; wave barrier
	s_and_saveexec_b64 s[4:5], vcc
	s_cbranch_execz .LBB34_14
; %bb.9:
	v_or_b32_e32 v4, 2, v0
	v_or_b32_e32 v5, 0x80, v7
	v_cmp_le_i32_e32 vcc, s7, v4
                                        ; implicit-def: $vgpr2_vgpr3
	s_and_saveexec_b64 s[6:7], vcc
	s_xor_b64 s[6:7], exec, s[6:7]
	s_cbranch_execz .LBB34_11
; %bb.10:
	ds_read_b64 v[2:3], v5
	ds_read_b64 v[4:5], v8
	s_waitcnt lgkmcnt(0)
	v_div_scale_f64 v[8:9], s[8:9], v[4:5], v[4:5], v[2:3]
	v_div_scale_f64 v[14:15], vcc, v[2:3], v[4:5], v[2:3]
	v_rcp_f64_e32 v[10:11], v[8:9]
	v_fma_f64 v[12:13], -v[8:9], v[10:11], 1.0
	v_fma_f64 v[10:11], v[10:11], v[12:13], v[10:11]
	v_fma_f64 v[12:13], -v[8:9], v[10:11], 1.0
	v_fma_f64 v[10:11], v[10:11], v[12:13], v[10:11]
	v_mul_f64 v[12:13], v[14:15], v[10:11]
	v_fma_f64 v[8:9], -v[8:9], v[12:13], v[14:15]
	v_div_fmas_f64 v[8:9], v[8:9], v[10:11], v[12:13]
	v_div_fixup_f64 v[2:3], v[8:9], v[4:5], v[2:3]
                                        ; implicit-def: $vgpr8
                                        ; implicit-def: $vgpr9
                                        ; implicit-def: $vgpr5
                                        ; implicit-def: $vgpr4
.LBB34_11:
	s_andn2_saveexec_b64 s[6:7], s[6:7]
	s_cbranch_execz .LBB34_13
; %bb.12:
	ds_read_b64 v[2:3], v9
	ds_read_b64 v[16:17], v7 offset:16
	ds_read2_b64 v[8:11], v8 offset1:2
	v_mov_b32_e32 v0, v4
	s_waitcnt lgkmcnt(1)
	v_mul_f64 v[12:13], v[2:3], v[16:17]
	s_waitcnt lgkmcnt(0)
	v_fma_f64 v[18:19], v[10:11], v[8:9], -v[12:13]
	v_div_scale_f64 v[12:13], s[8:9], v[18:19], v[18:19], 1.0
	v_rcp_f64_e32 v[14:15], v[12:13]
	v_fma_f64 v[20:21], -v[12:13], v[14:15], 1.0
	v_fma_f64 v[14:15], v[14:15], v[20:21], v[14:15]
	v_div_scale_f64 v[20:21], vcc, 1.0, v[18:19], 1.0
	v_fma_f64 v[22:23], -v[12:13], v[14:15], 1.0
	v_fma_f64 v[14:15], v[14:15], v[22:23], v[14:15]
	v_mul_f64 v[22:23], v[20:21], v[14:15]
	v_fma_f64 v[12:13], -v[12:13], v[22:23], v[20:21]
	v_div_fmas_f64 v[20:21], v[12:13], v[14:15], v[22:23]
	ds_read2_b64 v[12:15], v5 offset1:2
	s_waitcnt lgkmcnt(0)
	v_mul_f64 v[2:3], v[2:3], v[14:15]
	v_mul_f64 v[5:6], v[16:17], v[12:13]
	v_fma_f64 v[2:3], v[10:11], v[12:13], -v[2:3]
	v_fma_f64 v[5:6], v[8:9], v[14:15], -v[5:6]
	v_div_fixup_f64 v[10:11], v[20:21], v[18:19], 1.0
	v_mul_f64 v[8:9], v[10:11], v[2:3]
	v_mul_f64 v[2:3], v[10:11], v[5:6]
	ds_write_b64 v7, v[8:9] offset:96
.LBB34_13:
	s_or_b64 exec, exec, s[6:7]
	v_lshlrev_b32_e32 v0, 3, v0
	ds_write_b64 v0, v[2:3] offset:96
.LBB34_14:
	s_or_b64 exec, exec, s[4:5]
	s_waitcnt lgkmcnt(0)
	; wave barrier
	s_and_saveexec_b64 s[4:5], s[0:1]
	s_cbranch_execz .LBB34_16
; %bb.15:
	v_mov_b32_e32 v2, 0
	v_lshlrev_b64 v[0:1], 3, v[1:2]
	ds_read_b64 v[2:3], v7 offset:96
	v_mov_b32_e32 v4, s3
	v_add_co_u32_e32 v0, vcc, s2, v0
	v_addc_co_u32_e32 v1, vcc, v4, v1, vcc
	s_waitcnt lgkmcnt(0)
	global_store_dwordx2 v[0:1], v[2:3], off
.LBB34_16:
	s_endpgm
	.section	.rodata,"a",@progbits
	.p2align	6, 0x0
	.amdhsa_kernel _ZN9rocsparseL30gtsv_nopivot_pcr_shared_kernelILj4EdEEviiiPKT0_S3_S3_PS1_
		.amdhsa_group_segment_fixed_size 160
		.amdhsa_private_segment_fixed_size 0
		.amdhsa_kernarg_size 48
		.amdhsa_user_sgpr_count 6
		.amdhsa_user_sgpr_private_segment_buffer 1
		.amdhsa_user_sgpr_dispatch_ptr 0
		.amdhsa_user_sgpr_queue_ptr 0
		.amdhsa_user_sgpr_kernarg_segment_ptr 1
		.amdhsa_user_sgpr_dispatch_id 0
		.amdhsa_user_sgpr_flat_scratch_init 0
		.amdhsa_user_sgpr_private_segment_size 0
		.amdhsa_uses_dynamic_stack 0
		.amdhsa_system_sgpr_private_segment_wavefront_offset 0
		.amdhsa_system_sgpr_workgroup_id_x 1
		.amdhsa_system_sgpr_workgroup_id_y 0
		.amdhsa_system_sgpr_workgroup_id_z 0
		.amdhsa_system_sgpr_workgroup_info 0
		.amdhsa_system_vgpr_workitem_id 0
		.amdhsa_next_free_vgpr 25
		.amdhsa_next_free_sgpr 12
		.amdhsa_reserve_vcc 1
		.amdhsa_reserve_flat_scratch 0
		.amdhsa_float_round_mode_32 0
		.amdhsa_float_round_mode_16_64 0
		.amdhsa_float_denorm_mode_32 3
		.amdhsa_float_denorm_mode_16_64 3
		.amdhsa_dx10_clamp 1
		.amdhsa_ieee_mode 1
		.amdhsa_fp16_overflow 0
		.amdhsa_exception_fp_ieee_invalid_op 0
		.amdhsa_exception_fp_denorm_src 0
		.amdhsa_exception_fp_ieee_div_zero 0
		.amdhsa_exception_fp_ieee_overflow 0
		.amdhsa_exception_fp_ieee_underflow 0
		.amdhsa_exception_fp_ieee_inexact 0
		.amdhsa_exception_int_div_zero 0
	.end_amdhsa_kernel
	.section	.text._ZN9rocsparseL30gtsv_nopivot_pcr_shared_kernelILj4EdEEviiiPKT0_S3_S3_PS1_,"axG",@progbits,_ZN9rocsparseL30gtsv_nopivot_pcr_shared_kernelILj4EdEEviiiPKT0_S3_S3_PS1_,comdat
.Lfunc_end34:
	.size	_ZN9rocsparseL30gtsv_nopivot_pcr_shared_kernelILj4EdEEviiiPKT0_S3_S3_PS1_, .Lfunc_end34-_ZN9rocsparseL30gtsv_nopivot_pcr_shared_kernelILj4EdEEviiiPKT0_S3_S3_PS1_
                                        ; -- End function
	.set _ZN9rocsparseL30gtsv_nopivot_pcr_shared_kernelILj4EdEEviiiPKT0_S3_S3_PS1_.num_vgpr, 25
	.set _ZN9rocsparseL30gtsv_nopivot_pcr_shared_kernelILj4EdEEviiiPKT0_S3_S3_PS1_.num_agpr, 0
	.set _ZN9rocsparseL30gtsv_nopivot_pcr_shared_kernelILj4EdEEviiiPKT0_S3_S3_PS1_.numbered_sgpr, 12
	.set _ZN9rocsparseL30gtsv_nopivot_pcr_shared_kernelILj4EdEEviiiPKT0_S3_S3_PS1_.num_named_barrier, 0
	.set _ZN9rocsparseL30gtsv_nopivot_pcr_shared_kernelILj4EdEEviiiPKT0_S3_S3_PS1_.private_seg_size, 0
	.set _ZN9rocsparseL30gtsv_nopivot_pcr_shared_kernelILj4EdEEviiiPKT0_S3_S3_PS1_.uses_vcc, 1
	.set _ZN9rocsparseL30gtsv_nopivot_pcr_shared_kernelILj4EdEEviiiPKT0_S3_S3_PS1_.uses_flat_scratch, 0
	.set _ZN9rocsparseL30gtsv_nopivot_pcr_shared_kernelILj4EdEEviiiPKT0_S3_S3_PS1_.has_dyn_sized_stack, 0
	.set _ZN9rocsparseL30gtsv_nopivot_pcr_shared_kernelILj4EdEEviiiPKT0_S3_S3_PS1_.has_recursion, 0
	.set _ZN9rocsparseL30gtsv_nopivot_pcr_shared_kernelILj4EdEEviiiPKT0_S3_S3_PS1_.has_indirect_call, 0
	.section	.AMDGPU.csdata,"",@progbits
; Kernel info:
; codeLenInByte = 1092
; TotalNumSgprs: 16
; NumVgprs: 25
; ScratchSize: 0
; MemoryBound: 0
; FloatMode: 240
; IeeeMode: 1
; LDSByteSize: 160 bytes/workgroup (compile time only)
; SGPRBlocks: 1
; VGPRBlocks: 6
; NumSGPRsForWavesPerEU: 16
; NumVGPRsForWavesPerEU: 25
; Occupancy: 9
; WaveLimiterHint : 0
; COMPUTE_PGM_RSRC2:SCRATCH_EN: 0
; COMPUTE_PGM_RSRC2:USER_SGPR: 6
; COMPUTE_PGM_RSRC2:TRAP_HANDLER: 0
; COMPUTE_PGM_RSRC2:TGID_X_EN: 1
; COMPUTE_PGM_RSRC2:TGID_Y_EN: 0
; COMPUTE_PGM_RSRC2:TGID_Z_EN: 0
; COMPUTE_PGM_RSRC2:TIDIG_COMP_CNT: 0
	.section	.text._ZN9rocsparseL30gtsv_nopivot_pcr_shared_kernelILj8EdEEviiiPKT0_S3_S3_PS1_,"axG",@progbits,_ZN9rocsparseL30gtsv_nopivot_pcr_shared_kernelILj8EdEEviiiPKT0_S3_S3_PS1_,comdat
	.globl	_ZN9rocsparseL30gtsv_nopivot_pcr_shared_kernelILj8EdEEviiiPKT0_S3_S3_PS1_ ; -- Begin function _ZN9rocsparseL30gtsv_nopivot_pcr_shared_kernelILj8EdEEviiiPKT0_S3_S3_PS1_
	.p2align	8
	.type	_ZN9rocsparseL30gtsv_nopivot_pcr_shared_kernelILj8EdEEviiiPKT0_S3_S3_PS1_,@function
_ZN9rocsparseL30gtsv_nopivot_pcr_shared_kernelILj8EdEEviiiPKT0_S3_S3_PS1_: ; @_ZN9rocsparseL30gtsv_nopivot_pcr_shared_kernelILj8EdEEviiiPKT0_S3_S3_PS1_
; %bb.0:
	s_load_dword s7, s[4:5], 0x0
	v_mov_b32_e32 v1, 0
	v_mov_b32_e32 v3, 0
	;; [unrolled: 1-line block ×4, first 2 shown]
	s_waitcnt lgkmcnt(0)
	v_cmp_gt_i32_e64 s[0:1], s7, v0
	v_lshlrev_b32_e32 v7, 3, v0
	s_and_saveexec_b64 s[2:3], s[0:1]
	s_cbranch_execz .LBB35_2
; %bb.1:
	s_load_dwordx2 s[8:9], s[4:5], 0x10
	s_waitcnt lgkmcnt(0)
	global_load_dwordx2 v[3:4], v7, s[8:9]
.LBB35_2:
	s_or_b64 exec, exec, s[2:3]
	s_waitcnt vmcnt(0)
	ds_write_b64 v7, v[3:4]
	s_and_saveexec_b64 s[2:3], s[0:1]
	s_cbranch_execz .LBB35_4
; %bb.3:
	s_load_dwordx2 s[8:9], s[4:5], 0x18
	s_waitcnt lgkmcnt(0)
	global_load_dwordx2 v[1:2], v7, s[8:9]
.LBB35_4:
	s_or_b64 exec, exec, s[2:3]
	s_load_dwordx2 s[2:3], s[4:5], 0x28
	v_mov_b32_e32 v3, 0
	v_mov_b32_e32 v5, 0
	;; [unrolled: 1-line block ×4, first 2 shown]
	s_waitcnt vmcnt(0)
	ds_write_b64 v7, v[1:2] offset:64
	s_and_saveexec_b64 s[8:9], s[0:1]
	s_cbranch_execz .LBB35_6
; %bb.5:
	s_load_dwordx2 s[10:11], s[4:5], 0x20
	s_waitcnt lgkmcnt(0)
	global_load_dwordx2 v[5:6], v7, s[10:11]
.LBB35_6:
	s_or_b64 exec, exec, s[8:9]
	s_load_dword s4, s[4:5], 0x8
	v_or_b32_e32 v8, 64, v7
	v_or_b32_e32 v9, 0x80, v7
	s_waitcnt vmcnt(0)
	ds_write_b64 v7, v[5:6] offset:128
	s_waitcnt lgkmcnt(0)
	s_mul_i32 s4, s4, s6
	v_add_u32_e32 v1, s4, v0
	s_and_saveexec_b64 s[4:5], s[0:1]
	s_cbranch_execz .LBB35_8
; %bb.7:
	v_mov_b32_e32 v2, 0
	v_lshlrev_b64 v[2:3], 3, v[1:2]
	v_mov_b32_e32 v4, s3
	v_add_co_u32_e32 v2, vcc, s2, v2
	v_addc_co_u32_e32 v3, vcc, v4, v3, vcc
	global_load_dwordx2 v[3:4], v[2:3], off
.LBB35_8:
	s_or_b64 exec, exec, s[4:5]
	s_add_i32 s4, s7, -1
	v_add_u32_e32 v2, 1, v0
	v_min_i32_e32 v6, s4, v2
	v_sub_u32_e64 v2, v0, 1 clamp
	v_lshlrev_b32_e32 v24, 3, v2
	s_waitcnt vmcnt(0)
	ds_write_b64 v7, v[3:4] offset:256
	s_waitcnt lgkmcnt(0)
	; wave barrier
	ds_read_b64 v[10:11], v7
	ds_read2_b64 v[2:5], v24 offset1:8
	v_lshlrev_b32_e32 v6, 3, v6
	s_waitcnt lgkmcnt(0)
	v_div_scale_f64 v[12:13], s[8:9], v[4:5], v[4:5], v[10:11]
	v_rcp_f64_e32 v[14:15], v[12:13]
	v_fma_f64 v[16:17], -v[12:13], v[14:15], 1.0
	v_fma_f64 v[14:15], v[14:15], v[16:17], v[14:15]
	v_fma_f64 v[16:17], -v[12:13], v[14:15], 1.0
	v_fma_f64 v[14:15], v[14:15], v[16:17], v[14:15]
	v_div_scale_f64 v[16:17], vcc, v[10:11], v[4:5], v[10:11]
	v_mul_f64 v[18:19], v[16:17], v[14:15]
	v_fma_f64 v[12:13], -v[12:13], v[18:19], v[16:17]
	s_nop 1
	v_div_fmas_f64 v[12:13], v[12:13], v[14:15], v[18:19]
	ds_read_b64 v[14:15], v9
	v_div_fixup_f64 v[4:5], v[12:13], v[4:5], v[10:11]
	ds_read2_b64 v[10:13], v6 offset1:8
	s_waitcnt lgkmcnt(0)
	v_div_scale_f64 v[16:17], s[8:9], v[12:13], v[12:13], v[14:15]
	v_mul_f64 v[2:3], v[4:5], -v[2:3]
	v_rcp_f64_e32 v[18:19], v[16:17]
	v_fma_f64 v[20:21], -v[16:17], v[18:19], 1.0
	v_fma_f64 v[18:19], v[18:19], v[20:21], v[18:19]
	v_fma_f64 v[20:21], -v[16:17], v[18:19], 1.0
	v_fma_f64 v[18:19], v[18:19], v[20:21], v[18:19]
	v_div_scale_f64 v[20:21], vcc, v[14:15], v[12:13], v[14:15]
	v_mul_f64 v[22:23], v[20:21], v[18:19]
	v_fma_f64 v[16:17], -v[16:17], v[22:23], v[20:21]
	s_nop 1
	v_div_fmas_f64 v[16:17], v[16:17], v[18:19], v[22:23]
	v_div_fixup_f64 v[16:17], v[16:17], v[12:13], v[14:15]
	ds_read_b64 v[18:19], v8
	ds_read2_b64 v[12:15], v24 offset0:16 offset1:32
	s_waitcnt lgkmcnt(0)
	v_fma_f64 v[12:13], -v[4:5], v[12:13], v[18:19]
	v_fma_f64 v[18:19], -v[16:17], v[10:11], v[12:13]
	ds_read_b64 v[10:11], v7 offset:256
	s_waitcnt lgkmcnt(0)
	v_fma_f64 v[14:15], -v[4:5], v[14:15], v[10:11]
	ds_read2_b64 v[10:13], v6 offset0:16 offset1:32
	s_waitcnt lgkmcnt(0)
	; wave barrier
	v_mul_f64 v[4:5], v[16:17], -v[10:11]
	v_fma_f64 v[12:13], -v[16:17], v[12:13], v[14:15]
	ds_write_b64 v8, v[18:19]
	ds_write_b64 v7, v[12:13] offset:256
	ds_write_b64 v7, v[2:3]
	ds_write_b64 v9, v[4:5]
	v_add_u32_e32 v2, 2, v0
	v_min_i32_e32 v6, s4, v2
	v_sub_u32_e64 v2, v0, 2 clamp
	v_lshlrev_b32_e32 v24, 3, v2
	s_waitcnt lgkmcnt(0)
	; wave barrier
	ds_read_b64 v[10:11], v7
	ds_read2_b64 v[2:5], v24 offset1:8
	v_lshlrev_b32_e32 v6, 3, v6
	s_waitcnt lgkmcnt(0)
	v_div_scale_f64 v[12:13], s[4:5], v[4:5], v[4:5], v[10:11]
	v_rcp_f64_e32 v[14:15], v[12:13]
	v_fma_f64 v[16:17], -v[12:13], v[14:15], 1.0
	v_fma_f64 v[14:15], v[14:15], v[16:17], v[14:15]
	v_fma_f64 v[16:17], -v[12:13], v[14:15], 1.0
	v_fma_f64 v[14:15], v[14:15], v[16:17], v[14:15]
	v_div_scale_f64 v[16:17], vcc, v[10:11], v[4:5], v[10:11]
	v_mul_f64 v[18:19], v[16:17], v[14:15]
	v_fma_f64 v[12:13], -v[12:13], v[18:19], v[16:17]
	s_nop 1
	v_div_fmas_f64 v[12:13], v[12:13], v[14:15], v[18:19]
	ds_read_b64 v[14:15], v9
	v_div_fixup_f64 v[4:5], v[12:13], v[4:5], v[10:11]
	ds_read2_b64 v[10:13], v6 offset1:8
	s_waitcnt lgkmcnt(0)
	v_div_scale_f64 v[16:17], s[4:5], v[12:13], v[12:13], v[14:15]
	v_mul_f64 v[2:3], v[4:5], -v[2:3]
	v_rcp_f64_e32 v[18:19], v[16:17]
	v_fma_f64 v[20:21], -v[16:17], v[18:19], 1.0
	v_fma_f64 v[18:19], v[18:19], v[20:21], v[18:19]
	v_fma_f64 v[20:21], -v[16:17], v[18:19], 1.0
	v_fma_f64 v[18:19], v[18:19], v[20:21], v[18:19]
	v_div_scale_f64 v[20:21], vcc, v[14:15], v[12:13], v[14:15]
	v_mul_f64 v[22:23], v[20:21], v[18:19]
	v_fma_f64 v[16:17], -v[16:17], v[22:23], v[20:21]
	s_nop 1
	v_div_fmas_f64 v[16:17], v[16:17], v[18:19], v[22:23]
	v_cmp_gt_u32_e32 vcc, 4, v0
	v_div_fixup_f64 v[16:17], v[16:17], v[12:13], v[14:15]
	ds_read_b64 v[18:19], v8
	ds_read2_b64 v[12:15], v24 offset0:16 offset1:32
	s_waitcnt lgkmcnt(0)
	v_fma_f64 v[12:13], -v[4:5], v[12:13], v[18:19]
	v_fma_f64 v[18:19], -v[16:17], v[10:11], v[12:13]
	ds_read_b64 v[10:11], v7 offset:256
	s_waitcnt lgkmcnt(0)
	v_fma_f64 v[14:15], -v[4:5], v[14:15], v[10:11]
	ds_read2_b64 v[10:13], v6 offset0:16 offset1:32
	s_waitcnt lgkmcnt(0)
	; wave barrier
	v_mul_f64 v[4:5], v[16:17], -v[10:11]
	v_fma_f64 v[12:13], -v[16:17], v[12:13], v[14:15]
	ds_write_b64 v8, v[18:19]
	ds_write_b64 v7, v[12:13] offset:256
	ds_write_b64 v7, v[2:3]
	ds_write_b64 v9, v[4:5]
	s_waitcnt lgkmcnt(0)
	; wave barrier
	s_and_saveexec_b64 s[4:5], vcc
	s_cbranch_execz .LBB35_14
; %bb.9:
	v_or_b32_e32 v4, 4, v0
	v_or_b32_e32 v5, 0x100, v7
	v_cmp_le_i32_e32 vcc, s7, v4
                                        ; implicit-def: $vgpr2_vgpr3
	s_and_saveexec_b64 s[6:7], vcc
	s_xor_b64 s[6:7], exec, s[6:7]
	s_cbranch_execz .LBB35_11
; %bb.10:
	ds_read_b64 v[2:3], v5
	ds_read_b64 v[4:5], v8
	s_waitcnt lgkmcnt(0)
	v_div_scale_f64 v[8:9], s[8:9], v[4:5], v[4:5], v[2:3]
	v_div_scale_f64 v[14:15], vcc, v[2:3], v[4:5], v[2:3]
	v_rcp_f64_e32 v[10:11], v[8:9]
	v_fma_f64 v[12:13], -v[8:9], v[10:11], 1.0
	v_fma_f64 v[10:11], v[10:11], v[12:13], v[10:11]
	v_fma_f64 v[12:13], -v[8:9], v[10:11], 1.0
	v_fma_f64 v[10:11], v[10:11], v[12:13], v[10:11]
	v_mul_f64 v[12:13], v[14:15], v[10:11]
	v_fma_f64 v[8:9], -v[8:9], v[12:13], v[14:15]
	v_div_fmas_f64 v[8:9], v[8:9], v[10:11], v[12:13]
	v_div_fixup_f64 v[2:3], v[8:9], v[4:5], v[2:3]
                                        ; implicit-def: $vgpr8
                                        ; implicit-def: $vgpr9
                                        ; implicit-def: $vgpr5
                                        ; implicit-def: $vgpr4
.LBB35_11:
	s_andn2_saveexec_b64 s[6:7], s[6:7]
	s_cbranch_execz .LBB35_13
; %bb.12:
	ds_read_b64 v[2:3], v9
	ds_read_b64 v[16:17], v7 offset:32
	ds_read2_b64 v[8:11], v8 offset1:4
	v_mov_b32_e32 v0, v4
	s_waitcnt lgkmcnt(1)
	v_mul_f64 v[12:13], v[2:3], v[16:17]
	s_waitcnt lgkmcnt(0)
	v_fma_f64 v[18:19], v[10:11], v[8:9], -v[12:13]
	v_div_scale_f64 v[12:13], s[8:9], v[18:19], v[18:19], 1.0
	v_rcp_f64_e32 v[14:15], v[12:13]
	v_fma_f64 v[20:21], -v[12:13], v[14:15], 1.0
	v_fma_f64 v[14:15], v[14:15], v[20:21], v[14:15]
	v_div_scale_f64 v[20:21], vcc, 1.0, v[18:19], 1.0
	v_fma_f64 v[22:23], -v[12:13], v[14:15], 1.0
	v_fma_f64 v[14:15], v[14:15], v[22:23], v[14:15]
	v_mul_f64 v[22:23], v[20:21], v[14:15]
	v_fma_f64 v[12:13], -v[12:13], v[22:23], v[20:21]
	v_div_fmas_f64 v[20:21], v[12:13], v[14:15], v[22:23]
	ds_read2_b64 v[12:15], v5 offset1:4
	s_waitcnt lgkmcnt(0)
	v_mul_f64 v[2:3], v[2:3], v[14:15]
	v_mul_f64 v[5:6], v[16:17], v[12:13]
	v_fma_f64 v[2:3], v[10:11], v[12:13], -v[2:3]
	v_fma_f64 v[5:6], v[8:9], v[14:15], -v[5:6]
	v_div_fixup_f64 v[10:11], v[20:21], v[18:19], 1.0
	v_mul_f64 v[8:9], v[10:11], v[2:3]
	v_mul_f64 v[2:3], v[10:11], v[5:6]
	ds_write_b64 v7, v[8:9] offset:192
.LBB35_13:
	s_or_b64 exec, exec, s[6:7]
	v_lshlrev_b32_e32 v0, 3, v0
	ds_write_b64 v0, v[2:3] offset:192
.LBB35_14:
	s_or_b64 exec, exec, s[4:5]
	s_waitcnt lgkmcnt(0)
	; wave barrier
	s_and_saveexec_b64 s[4:5], s[0:1]
	s_cbranch_execz .LBB35_16
; %bb.15:
	v_mov_b32_e32 v2, 0
	v_lshlrev_b64 v[0:1], 3, v[1:2]
	ds_read_b64 v[2:3], v7 offset:192
	v_mov_b32_e32 v4, s3
	v_add_co_u32_e32 v0, vcc, s2, v0
	v_addc_co_u32_e32 v1, vcc, v4, v1, vcc
	s_waitcnt lgkmcnt(0)
	global_store_dwordx2 v[0:1], v[2:3], off
.LBB35_16:
	s_endpgm
	.section	.rodata,"a",@progbits
	.p2align	6, 0x0
	.amdhsa_kernel _ZN9rocsparseL30gtsv_nopivot_pcr_shared_kernelILj8EdEEviiiPKT0_S3_S3_PS1_
		.amdhsa_group_segment_fixed_size 320
		.amdhsa_private_segment_fixed_size 0
		.amdhsa_kernarg_size 48
		.amdhsa_user_sgpr_count 6
		.amdhsa_user_sgpr_private_segment_buffer 1
		.amdhsa_user_sgpr_dispatch_ptr 0
		.amdhsa_user_sgpr_queue_ptr 0
		.amdhsa_user_sgpr_kernarg_segment_ptr 1
		.amdhsa_user_sgpr_dispatch_id 0
		.amdhsa_user_sgpr_flat_scratch_init 0
		.amdhsa_user_sgpr_private_segment_size 0
		.amdhsa_uses_dynamic_stack 0
		.amdhsa_system_sgpr_private_segment_wavefront_offset 0
		.amdhsa_system_sgpr_workgroup_id_x 1
		.amdhsa_system_sgpr_workgroup_id_y 0
		.amdhsa_system_sgpr_workgroup_id_z 0
		.amdhsa_system_sgpr_workgroup_info 0
		.amdhsa_system_vgpr_workitem_id 0
		.amdhsa_next_free_vgpr 25
		.amdhsa_next_free_sgpr 12
		.amdhsa_reserve_vcc 1
		.amdhsa_reserve_flat_scratch 0
		.amdhsa_float_round_mode_32 0
		.amdhsa_float_round_mode_16_64 0
		.amdhsa_float_denorm_mode_32 3
		.amdhsa_float_denorm_mode_16_64 3
		.amdhsa_dx10_clamp 1
		.amdhsa_ieee_mode 1
		.amdhsa_fp16_overflow 0
		.amdhsa_exception_fp_ieee_invalid_op 0
		.amdhsa_exception_fp_denorm_src 0
		.amdhsa_exception_fp_ieee_div_zero 0
		.amdhsa_exception_fp_ieee_overflow 0
		.amdhsa_exception_fp_ieee_underflow 0
		.amdhsa_exception_fp_ieee_inexact 0
		.amdhsa_exception_int_div_zero 0
	.end_amdhsa_kernel
	.section	.text._ZN9rocsparseL30gtsv_nopivot_pcr_shared_kernelILj8EdEEviiiPKT0_S3_S3_PS1_,"axG",@progbits,_ZN9rocsparseL30gtsv_nopivot_pcr_shared_kernelILj8EdEEviiiPKT0_S3_S3_PS1_,comdat
.Lfunc_end35:
	.size	_ZN9rocsparseL30gtsv_nopivot_pcr_shared_kernelILj8EdEEviiiPKT0_S3_S3_PS1_, .Lfunc_end35-_ZN9rocsparseL30gtsv_nopivot_pcr_shared_kernelILj8EdEEviiiPKT0_S3_S3_PS1_
                                        ; -- End function
	.set _ZN9rocsparseL30gtsv_nopivot_pcr_shared_kernelILj8EdEEviiiPKT0_S3_S3_PS1_.num_vgpr, 25
	.set _ZN9rocsparseL30gtsv_nopivot_pcr_shared_kernelILj8EdEEviiiPKT0_S3_S3_PS1_.num_agpr, 0
	.set _ZN9rocsparseL30gtsv_nopivot_pcr_shared_kernelILj8EdEEviiiPKT0_S3_S3_PS1_.numbered_sgpr, 12
	.set _ZN9rocsparseL30gtsv_nopivot_pcr_shared_kernelILj8EdEEviiiPKT0_S3_S3_PS1_.num_named_barrier, 0
	.set _ZN9rocsparseL30gtsv_nopivot_pcr_shared_kernelILj8EdEEviiiPKT0_S3_S3_PS1_.private_seg_size, 0
	.set _ZN9rocsparseL30gtsv_nopivot_pcr_shared_kernelILj8EdEEviiiPKT0_S3_S3_PS1_.uses_vcc, 1
	.set _ZN9rocsparseL30gtsv_nopivot_pcr_shared_kernelILj8EdEEviiiPKT0_S3_S3_PS1_.uses_flat_scratch, 0
	.set _ZN9rocsparseL30gtsv_nopivot_pcr_shared_kernelILj8EdEEviiiPKT0_S3_S3_PS1_.has_dyn_sized_stack, 0
	.set _ZN9rocsparseL30gtsv_nopivot_pcr_shared_kernelILj8EdEEviiiPKT0_S3_S3_PS1_.has_recursion, 0
	.set _ZN9rocsparseL30gtsv_nopivot_pcr_shared_kernelILj8EdEEviiiPKT0_S3_S3_PS1_.has_indirect_call, 0
	.section	.AMDGPU.csdata,"",@progbits
; Kernel info:
; codeLenInByte = 1464
; TotalNumSgprs: 16
; NumVgprs: 25
; ScratchSize: 0
; MemoryBound: 0
; FloatMode: 240
; IeeeMode: 1
; LDSByteSize: 320 bytes/workgroup (compile time only)
; SGPRBlocks: 1
; VGPRBlocks: 6
; NumSGPRsForWavesPerEU: 16
; NumVGPRsForWavesPerEU: 25
; Occupancy: 9
; WaveLimiterHint : 0
; COMPUTE_PGM_RSRC2:SCRATCH_EN: 0
; COMPUTE_PGM_RSRC2:USER_SGPR: 6
; COMPUTE_PGM_RSRC2:TRAP_HANDLER: 0
; COMPUTE_PGM_RSRC2:TGID_X_EN: 1
; COMPUTE_PGM_RSRC2:TGID_Y_EN: 0
; COMPUTE_PGM_RSRC2:TGID_Z_EN: 0
; COMPUTE_PGM_RSRC2:TIDIG_COMP_CNT: 0
	.section	.text._ZN9rocsparseL30gtsv_nopivot_pcr_shared_kernelILj16EdEEviiiPKT0_S3_S3_PS1_,"axG",@progbits,_ZN9rocsparseL30gtsv_nopivot_pcr_shared_kernelILj16EdEEviiiPKT0_S3_S3_PS1_,comdat
	.globl	_ZN9rocsparseL30gtsv_nopivot_pcr_shared_kernelILj16EdEEviiiPKT0_S3_S3_PS1_ ; -- Begin function _ZN9rocsparseL30gtsv_nopivot_pcr_shared_kernelILj16EdEEviiiPKT0_S3_S3_PS1_
	.p2align	8
	.type	_ZN9rocsparseL30gtsv_nopivot_pcr_shared_kernelILj16EdEEviiiPKT0_S3_S3_PS1_,@function
_ZN9rocsparseL30gtsv_nopivot_pcr_shared_kernelILj16EdEEviiiPKT0_S3_S3_PS1_: ; @_ZN9rocsparseL30gtsv_nopivot_pcr_shared_kernelILj16EdEEviiiPKT0_S3_S3_PS1_
; %bb.0:
	s_load_dword s7, s[4:5], 0x0
	v_mov_b32_e32 v1, 0
	v_mov_b32_e32 v3, 0
	;; [unrolled: 1-line block ×4, first 2 shown]
	s_waitcnt lgkmcnt(0)
	v_cmp_gt_i32_e64 s[0:1], s7, v0
	v_lshlrev_b32_e32 v7, 3, v0
	s_and_saveexec_b64 s[2:3], s[0:1]
	s_cbranch_execz .LBB36_2
; %bb.1:
	s_load_dwordx2 s[8:9], s[4:5], 0x10
	s_waitcnt lgkmcnt(0)
	global_load_dwordx2 v[3:4], v7, s[8:9]
.LBB36_2:
	s_or_b64 exec, exec, s[2:3]
	s_waitcnt vmcnt(0)
	ds_write_b64 v7, v[3:4]
	s_and_saveexec_b64 s[2:3], s[0:1]
	s_cbranch_execz .LBB36_4
; %bb.3:
	s_load_dwordx2 s[8:9], s[4:5], 0x18
	s_waitcnt lgkmcnt(0)
	global_load_dwordx2 v[1:2], v7, s[8:9]
.LBB36_4:
	s_or_b64 exec, exec, s[2:3]
	s_load_dwordx2 s[2:3], s[4:5], 0x28
	v_mov_b32_e32 v3, 0
	v_mov_b32_e32 v5, 0
	;; [unrolled: 1-line block ×4, first 2 shown]
	s_waitcnt vmcnt(0)
	ds_write_b64 v7, v[1:2] offset:128
	s_and_saveexec_b64 s[8:9], s[0:1]
	s_cbranch_execz .LBB36_6
; %bb.5:
	s_load_dwordx2 s[10:11], s[4:5], 0x20
	s_waitcnt lgkmcnt(0)
	global_load_dwordx2 v[5:6], v7, s[10:11]
.LBB36_6:
	s_or_b64 exec, exec, s[8:9]
	s_load_dword s4, s[4:5], 0x8
	v_or_b32_e32 v8, 0x80, v7
	v_or_b32_e32 v9, 0x100, v7
	s_waitcnt vmcnt(0)
	ds_write_b64 v7, v[5:6] offset:256
	s_waitcnt lgkmcnt(0)
	s_mul_i32 s4, s4, s6
	v_add_u32_e32 v1, s4, v0
	s_and_saveexec_b64 s[4:5], s[0:1]
	s_cbranch_execz .LBB36_8
; %bb.7:
	v_mov_b32_e32 v2, 0
	v_lshlrev_b64 v[2:3], 3, v[1:2]
	v_mov_b32_e32 v4, s3
	v_add_co_u32_e32 v2, vcc, s2, v2
	v_addc_co_u32_e32 v3, vcc, v4, v3, vcc
	global_load_dwordx2 v[3:4], v[2:3], off
.LBB36_8:
	s_or_b64 exec, exec, s[4:5]
	s_add_i32 s4, s7, -1
	v_add_u32_e32 v2, 1, v0
	v_min_i32_e32 v6, s4, v2
	v_sub_u32_e64 v2, v0, 1 clamp
	v_lshlrev_b32_e32 v24, 3, v2
	s_waitcnt vmcnt(0)
	ds_write_b64 v7, v[3:4] offset:512
	s_waitcnt lgkmcnt(0)
	; wave barrier
	ds_read_b64 v[10:11], v7
	ds_read2_b64 v[2:5], v24 offset1:16
	v_lshlrev_b32_e32 v6, 3, v6
	s_waitcnt lgkmcnt(0)
	v_div_scale_f64 v[12:13], s[8:9], v[4:5], v[4:5], v[10:11]
	v_rcp_f64_e32 v[14:15], v[12:13]
	v_fma_f64 v[16:17], -v[12:13], v[14:15], 1.0
	v_fma_f64 v[14:15], v[14:15], v[16:17], v[14:15]
	v_fma_f64 v[16:17], -v[12:13], v[14:15], 1.0
	v_fma_f64 v[14:15], v[14:15], v[16:17], v[14:15]
	v_div_scale_f64 v[16:17], vcc, v[10:11], v[4:5], v[10:11]
	v_mul_f64 v[18:19], v[16:17], v[14:15]
	v_fma_f64 v[12:13], -v[12:13], v[18:19], v[16:17]
	s_nop 1
	v_div_fmas_f64 v[12:13], v[12:13], v[14:15], v[18:19]
	ds_read_b64 v[14:15], v9
	v_div_fixup_f64 v[4:5], v[12:13], v[4:5], v[10:11]
	ds_read2_b64 v[10:13], v6 offset1:16
	s_waitcnt lgkmcnt(0)
	v_div_scale_f64 v[16:17], s[8:9], v[12:13], v[12:13], v[14:15]
	v_mul_f64 v[2:3], v[4:5], -v[2:3]
	v_rcp_f64_e32 v[18:19], v[16:17]
	v_fma_f64 v[20:21], -v[16:17], v[18:19], 1.0
	v_fma_f64 v[18:19], v[18:19], v[20:21], v[18:19]
	v_fma_f64 v[20:21], -v[16:17], v[18:19], 1.0
	v_fma_f64 v[18:19], v[18:19], v[20:21], v[18:19]
	v_div_scale_f64 v[20:21], vcc, v[14:15], v[12:13], v[14:15]
	v_mul_f64 v[22:23], v[20:21], v[18:19]
	v_fma_f64 v[16:17], -v[16:17], v[22:23], v[20:21]
	s_nop 1
	v_div_fmas_f64 v[16:17], v[16:17], v[18:19], v[22:23]
	v_div_fixup_f64 v[16:17], v[16:17], v[12:13], v[14:15]
	ds_read_b64 v[18:19], v8
	ds_read2_b64 v[12:15], v24 offset0:32 offset1:64
	s_waitcnt lgkmcnt(0)
	v_fma_f64 v[12:13], -v[4:5], v[12:13], v[18:19]
	v_fma_f64 v[18:19], -v[16:17], v[10:11], v[12:13]
	ds_read_b64 v[10:11], v7 offset:512
	s_waitcnt lgkmcnt(0)
	v_fma_f64 v[14:15], -v[4:5], v[14:15], v[10:11]
	ds_read2_b64 v[10:13], v6 offset0:32 offset1:64
	s_waitcnt lgkmcnt(0)
	; wave barrier
	v_mul_f64 v[4:5], v[16:17], -v[10:11]
	v_fma_f64 v[12:13], -v[16:17], v[12:13], v[14:15]
	ds_write_b64 v8, v[18:19]
	ds_write_b64 v7, v[12:13] offset:512
	ds_write_b64 v7, v[2:3]
	ds_write_b64 v9, v[4:5]
	v_add_u32_e32 v2, 2, v0
	v_min_i32_e32 v6, s4, v2
	v_sub_u32_e64 v2, v0, 2 clamp
	v_lshlrev_b32_e32 v24, 3, v2
	s_waitcnt lgkmcnt(0)
	; wave barrier
	ds_read_b64 v[10:11], v7
	ds_read2_b64 v[2:5], v24 offset1:16
	v_lshlrev_b32_e32 v6, 3, v6
	s_waitcnt lgkmcnt(0)
	v_div_scale_f64 v[12:13], s[8:9], v[4:5], v[4:5], v[10:11]
	v_rcp_f64_e32 v[14:15], v[12:13]
	v_fma_f64 v[16:17], -v[12:13], v[14:15], 1.0
	v_fma_f64 v[14:15], v[14:15], v[16:17], v[14:15]
	v_fma_f64 v[16:17], -v[12:13], v[14:15], 1.0
	v_fma_f64 v[14:15], v[14:15], v[16:17], v[14:15]
	v_div_scale_f64 v[16:17], vcc, v[10:11], v[4:5], v[10:11]
	v_mul_f64 v[18:19], v[16:17], v[14:15]
	v_fma_f64 v[12:13], -v[12:13], v[18:19], v[16:17]
	s_nop 1
	v_div_fmas_f64 v[12:13], v[12:13], v[14:15], v[18:19]
	ds_read_b64 v[14:15], v9
	v_div_fixup_f64 v[4:5], v[12:13], v[4:5], v[10:11]
	ds_read2_b64 v[10:13], v6 offset1:16
	s_waitcnt lgkmcnt(0)
	v_div_scale_f64 v[16:17], s[8:9], v[12:13], v[12:13], v[14:15]
	v_mul_f64 v[2:3], v[4:5], -v[2:3]
	v_rcp_f64_e32 v[18:19], v[16:17]
	v_fma_f64 v[20:21], -v[16:17], v[18:19], 1.0
	v_fma_f64 v[18:19], v[18:19], v[20:21], v[18:19]
	v_fma_f64 v[20:21], -v[16:17], v[18:19], 1.0
	v_fma_f64 v[18:19], v[18:19], v[20:21], v[18:19]
	v_div_scale_f64 v[20:21], vcc, v[14:15], v[12:13], v[14:15]
	v_mul_f64 v[22:23], v[20:21], v[18:19]
	v_fma_f64 v[16:17], -v[16:17], v[22:23], v[20:21]
	s_nop 1
	v_div_fmas_f64 v[16:17], v[16:17], v[18:19], v[22:23]
	v_div_fixup_f64 v[16:17], v[16:17], v[12:13], v[14:15]
	ds_read_b64 v[18:19], v8
	ds_read2_b64 v[12:15], v24 offset0:32 offset1:64
	s_waitcnt lgkmcnt(0)
	v_fma_f64 v[12:13], -v[4:5], v[12:13], v[18:19]
	v_fma_f64 v[18:19], -v[16:17], v[10:11], v[12:13]
	ds_read_b64 v[10:11], v7 offset:512
	s_waitcnt lgkmcnt(0)
	v_fma_f64 v[14:15], -v[4:5], v[14:15], v[10:11]
	ds_read2_b64 v[10:13], v6 offset0:32 offset1:64
	s_waitcnt lgkmcnt(0)
	; wave barrier
	v_mul_f64 v[4:5], v[16:17], -v[10:11]
	v_fma_f64 v[12:13], -v[16:17], v[12:13], v[14:15]
	ds_write_b64 v8, v[18:19]
	ds_write_b64 v7, v[12:13] offset:512
	ds_write_b64 v7, v[2:3]
	ds_write_b64 v9, v[4:5]
	v_add_u32_e32 v2, 4, v0
	v_min_i32_e32 v6, s4, v2
	v_sub_u32_e64 v2, v0, 4 clamp
	v_lshlrev_b32_e32 v24, 3, v2
	s_waitcnt lgkmcnt(0)
	; wave barrier
	ds_read_b64 v[10:11], v7
	ds_read2_b64 v[2:5], v24 offset1:16
	v_lshlrev_b32_e32 v6, 3, v6
	s_waitcnt lgkmcnt(0)
	v_div_scale_f64 v[12:13], s[4:5], v[4:5], v[4:5], v[10:11]
	v_rcp_f64_e32 v[14:15], v[12:13]
	v_fma_f64 v[16:17], -v[12:13], v[14:15], 1.0
	v_fma_f64 v[14:15], v[14:15], v[16:17], v[14:15]
	v_fma_f64 v[16:17], -v[12:13], v[14:15], 1.0
	v_fma_f64 v[14:15], v[14:15], v[16:17], v[14:15]
	v_div_scale_f64 v[16:17], vcc, v[10:11], v[4:5], v[10:11]
	v_mul_f64 v[18:19], v[16:17], v[14:15]
	v_fma_f64 v[12:13], -v[12:13], v[18:19], v[16:17]
	s_nop 1
	v_div_fmas_f64 v[12:13], v[12:13], v[14:15], v[18:19]
	ds_read_b64 v[14:15], v9
	v_div_fixup_f64 v[4:5], v[12:13], v[4:5], v[10:11]
	ds_read2_b64 v[10:13], v6 offset1:16
	s_waitcnt lgkmcnt(0)
	v_div_scale_f64 v[16:17], s[4:5], v[12:13], v[12:13], v[14:15]
	v_mul_f64 v[2:3], v[4:5], -v[2:3]
	v_rcp_f64_e32 v[18:19], v[16:17]
	v_fma_f64 v[20:21], -v[16:17], v[18:19], 1.0
	v_fma_f64 v[18:19], v[18:19], v[20:21], v[18:19]
	v_fma_f64 v[20:21], -v[16:17], v[18:19], 1.0
	v_fma_f64 v[18:19], v[18:19], v[20:21], v[18:19]
	v_div_scale_f64 v[20:21], vcc, v[14:15], v[12:13], v[14:15]
	v_mul_f64 v[22:23], v[20:21], v[18:19]
	v_fma_f64 v[16:17], -v[16:17], v[22:23], v[20:21]
	s_nop 1
	v_div_fmas_f64 v[16:17], v[16:17], v[18:19], v[22:23]
	v_cmp_gt_u32_e32 vcc, 8, v0
	v_div_fixup_f64 v[16:17], v[16:17], v[12:13], v[14:15]
	ds_read_b64 v[18:19], v8
	ds_read2_b64 v[12:15], v24 offset0:32 offset1:64
	s_waitcnt lgkmcnt(0)
	v_fma_f64 v[12:13], -v[4:5], v[12:13], v[18:19]
	v_fma_f64 v[18:19], -v[16:17], v[10:11], v[12:13]
	ds_read_b64 v[10:11], v7 offset:512
	s_waitcnt lgkmcnt(0)
	v_fma_f64 v[14:15], -v[4:5], v[14:15], v[10:11]
	ds_read2_b64 v[10:13], v6 offset0:32 offset1:64
	s_waitcnt lgkmcnt(0)
	; wave barrier
	v_mul_f64 v[4:5], v[16:17], -v[10:11]
	v_fma_f64 v[12:13], -v[16:17], v[12:13], v[14:15]
	ds_write_b64 v8, v[18:19]
	ds_write_b64 v7, v[12:13] offset:512
	ds_write_b64 v7, v[2:3]
	ds_write_b64 v9, v[4:5]
	s_waitcnt lgkmcnt(0)
	; wave barrier
	s_and_saveexec_b64 s[4:5], vcc
	s_cbranch_execz .LBB36_14
; %bb.9:
	v_or_b32_e32 v4, 8, v0
	v_or_b32_e32 v5, 0x200, v7
	v_cmp_le_i32_e32 vcc, s7, v4
                                        ; implicit-def: $vgpr2_vgpr3
	s_and_saveexec_b64 s[6:7], vcc
	s_xor_b64 s[6:7], exec, s[6:7]
	s_cbranch_execz .LBB36_11
; %bb.10:
	ds_read_b64 v[2:3], v5
	ds_read_b64 v[4:5], v8
	s_waitcnt lgkmcnt(0)
	v_div_scale_f64 v[8:9], s[8:9], v[4:5], v[4:5], v[2:3]
	v_div_scale_f64 v[14:15], vcc, v[2:3], v[4:5], v[2:3]
	v_rcp_f64_e32 v[10:11], v[8:9]
	v_fma_f64 v[12:13], -v[8:9], v[10:11], 1.0
	v_fma_f64 v[10:11], v[10:11], v[12:13], v[10:11]
	v_fma_f64 v[12:13], -v[8:9], v[10:11], 1.0
	v_fma_f64 v[10:11], v[10:11], v[12:13], v[10:11]
	v_mul_f64 v[12:13], v[14:15], v[10:11]
	v_fma_f64 v[8:9], -v[8:9], v[12:13], v[14:15]
	v_div_fmas_f64 v[8:9], v[8:9], v[10:11], v[12:13]
	v_div_fixup_f64 v[2:3], v[8:9], v[4:5], v[2:3]
                                        ; implicit-def: $vgpr8
                                        ; implicit-def: $vgpr9
                                        ; implicit-def: $vgpr5
                                        ; implicit-def: $vgpr4
.LBB36_11:
	s_andn2_saveexec_b64 s[6:7], s[6:7]
	s_cbranch_execz .LBB36_13
; %bb.12:
	ds_read_b64 v[2:3], v9
	ds_read_b64 v[16:17], v7 offset:64
	ds_read2_b64 v[8:11], v8 offset1:8
	v_mov_b32_e32 v0, v4
	s_waitcnt lgkmcnt(1)
	v_mul_f64 v[12:13], v[2:3], v[16:17]
	s_waitcnt lgkmcnt(0)
	v_fma_f64 v[18:19], v[10:11], v[8:9], -v[12:13]
	v_div_scale_f64 v[12:13], s[8:9], v[18:19], v[18:19], 1.0
	v_rcp_f64_e32 v[14:15], v[12:13]
	v_fma_f64 v[20:21], -v[12:13], v[14:15], 1.0
	v_fma_f64 v[14:15], v[14:15], v[20:21], v[14:15]
	v_div_scale_f64 v[20:21], vcc, 1.0, v[18:19], 1.0
	v_fma_f64 v[22:23], -v[12:13], v[14:15], 1.0
	v_fma_f64 v[14:15], v[14:15], v[22:23], v[14:15]
	v_mul_f64 v[22:23], v[20:21], v[14:15]
	v_fma_f64 v[12:13], -v[12:13], v[22:23], v[20:21]
	v_div_fmas_f64 v[20:21], v[12:13], v[14:15], v[22:23]
	ds_read2_b64 v[12:15], v5 offset1:8
	s_waitcnt lgkmcnt(0)
	v_mul_f64 v[2:3], v[2:3], v[14:15]
	v_mul_f64 v[5:6], v[16:17], v[12:13]
	v_fma_f64 v[2:3], v[10:11], v[12:13], -v[2:3]
	v_fma_f64 v[5:6], v[8:9], v[14:15], -v[5:6]
	v_div_fixup_f64 v[10:11], v[20:21], v[18:19], 1.0
	v_mul_f64 v[8:9], v[10:11], v[2:3]
	v_mul_f64 v[2:3], v[10:11], v[5:6]
	ds_write_b64 v7, v[8:9] offset:384
.LBB36_13:
	s_or_b64 exec, exec, s[6:7]
	v_lshlrev_b32_e32 v0, 3, v0
	ds_write_b64 v0, v[2:3] offset:384
.LBB36_14:
	s_or_b64 exec, exec, s[4:5]
	s_waitcnt lgkmcnt(0)
	; wave barrier
	s_and_saveexec_b64 s[4:5], s[0:1]
	s_cbranch_execz .LBB36_16
; %bb.15:
	v_mov_b32_e32 v2, 0
	v_lshlrev_b64 v[0:1], 3, v[1:2]
	ds_read_b64 v[2:3], v7 offset:384
	v_mov_b32_e32 v4, s3
	v_add_co_u32_e32 v0, vcc, s2, v0
	v_addc_co_u32_e32 v1, vcc, v4, v1, vcc
	s_waitcnt lgkmcnt(0)
	global_store_dwordx2 v[0:1], v[2:3], off
.LBB36_16:
	s_endpgm
	.section	.rodata,"a",@progbits
	.p2align	6, 0x0
	.amdhsa_kernel _ZN9rocsparseL30gtsv_nopivot_pcr_shared_kernelILj16EdEEviiiPKT0_S3_S3_PS1_
		.amdhsa_group_segment_fixed_size 640
		.amdhsa_private_segment_fixed_size 0
		.amdhsa_kernarg_size 48
		.amdhsa_user_sgpr_count 6
		.amdhsa_user_sgpr_private_segment_buffer 1
		.amdhsa_user_sgpr_dispatch_ptr 0
		.amdhsa_user_sgpr_queue_ptr 0
		.amdhsa_user_sgpr_kernarg_segment_ptr 1
		.amdhsa_user_sgpr_dispatch_id 0
		.amdhsa_user_sgpr_flat_scratch_init 0
		.amdhsa_user_sgpr_private_segment_size 0
		.amdhsa_uses_dynamic_stack 0
		.amdhsa_system_sgpr_private_segment_wavefront_offset 0
		.amdhsa_system_sgpr_workgroup_id_x 1
		.amdhsa_system_sgpr_workgroup_id_y 0
		.amdhsa_system_sgpr_workgroup_id_z 0
		.amdhsa_system_sgpr_workgroup_info 0
		.amdhsa_system_vgpr_workitem_id 0
		.amdhsa_next_free_vgpr 25
		.amdhsa_next_free_sgpr 12
		.amdhsa_reserve_vcc 1
		.amdhsa_reserve_flat_scratch 0
		.amdhsa_float_round_mode_32 0
		.amdhsa_float_round_mode_16_64 0
		.amdhsa_float_denorm_mode_32 3
		.amdhsa_float_denorm_mode_16_64 3
		.amdhsa_dx10_clamp 1
		.amdhsa_ieee_mode 1
		.amdhsa_fp16_overflow 0
		.amdhsa_exception_fp_ieee_invalid_op 0
		.amdhsa_exception_fp_denorm_src 0
		.amdhsa_exception_fp_ieee_div_zero 0
		.amdhsa_exception_fp_ieee_overflow 0
		.amdhsa_exception_fp_ieee_underflow 0
		.amdhsa_exception_fp_ieee_inexact 0
		.amdhsa_exception_int_div_zero 0
	.end_amdhsa_kernel
	.section	.text._ZN9rocsparseL30gtsv_nopivot_pcr_shared_kernelILj16EdEEviiiPKT0_S3_S3_PS1_,"axG",@progbits,_ZN9rocsparseL30gtsv_nopivot_pcr_shared_kernelILj16EdEEviiiPKT0_S3_S3_PS1_,comdat
.Lfunc_end36:
	.size	_ZN9rocsparseL30gtsv_nopivot_pcr_shared_kernelILj16EdEEviiiPKT0_S3_S3_PS1_, .Lfunc_end36-_ZN9rocsparseL30gtsv_nopivot_pcr_shared_kernelILj16EdEEviiiPKT0_S3_S3_PS1_
                                        ; -- End function
	.set _ZN9rocsparseL30gtsv_nopivot_pcr_shared_kernelILj16EdEEviiiPKT0_S3_S3_PS1_.num_vgpr, 25
	.set _ZN9rocsparseL30gtsv_nopivot_pcr_shared_kernelILj16EdEEviiiPKT0_S3_S3_PS1_.num_agpr, 0
	.set _ZN9rocsparseL30gtsv_nopivot_pcr_shared_kernelILj16EdEEviiiPKT0_S3_S3_PS1_.numbered_sgpr, 12
	.set _ZN9rocsparseL30gtsv_nopivot_pcr_shared_kernelILj16EdEEviiiPKT0_S3_S3_PS1_.num_named_barrier, 0
	.set _ZN9rocsparseL30gtsv_nopivot_pcr_shared_kernelILj16EdEEviiiPKT0_S3_S3_PS1_.private_seg_size, 0
	.set _ZN9rocsparseL30gtsv_nopivot_pcr_shared_kernelILj16EdEEviiiPKT0_S3_S3_PS1_.uses_vcc, 1
	.set _ZN9rocsparseL30gtsv_nopivot_pcr_shared_kernelILj16EdEEviiiPKT0_S3_S3_PS1_.uses_flat_scratch, 0
	.set _ZN9rocsparseL30gtsv_nopivot_pcr_shared_kernelILj16EdEEviiiPKT0_S3_S3_PS1_.has_dyn_sized_stack, 0
	.set _ZN9rocsparseL30gtsv_nopivot_pcr_shared_kernelILj16EdEEviiiPKT0_S3_S3_PS1_.has_recursion, 0
	.set _ZN9rocsparseL30gtsv_nopivot_pcr_shared_kernelILj16EdEEviiiPKT0_S3_S3_PS1_.has_indirect_call, 0
	.section	.AMDGPU.csdata,"",@progbits
; Kernel info:
; codeLenInByte = 1836
; TotalNumSgprs: 16
; NumVgprs: 25
; ScratchSize: 0
; MemoryBound: 0
; FloatMode: 240
; IeeeMode: 1
; LDSByteSize: 640 bytes/workgroup (compile time only)
; SGPRBlocks: 1
; VGPRBlocks: 6
; NumSGPRsForWavesPerEU: 16
; NumVGPRsForWavesPerEU: 25
; Occupancy: 9
; WaveLimiterHint : 0
; COMPUTE_PGM_RSRC2:SCRATCH_EN: 0
; COMPUTE_PGM_RSRC2:USER_SGPR: 6
; COMPUTE_PGM_RSRC2:TRAP_HANDLER: 0
; COMPUTE_PGM_RSRC2:TGID_X_EN: 1
; COMPUTE_PGM_RSRC2:TGID_Y_EN: 0
; COMPUTE_PGM_RSRC2:TGID_Z_EN: 0
; COMPUTE_PGM_RSRC2:TIDIG_COMP_CNT: 0
	.section	.text._ZN9rocsparseL30gtsv_nopivot_pcr_shared_kernelILj32EdEEviiiPKT0_S3_S3_PS1_,"axG",@progbits,_ZN9rocsparseL30gtsv_nopivot_pcr_shared_kernelILj32EdEEviiiPKT0_S3_S3_PS1_,comdat
	.globl	_ZN9rocsparseL30gtsv_nopivot_pcr_shared_kernelILj32EdEEviiiPKT0_S3_S3_PS1_ ; -- Begin function _ZN9rocsparseL30gtsv_nopivot_pcr_shared_kernelILj32EdEEviiiPKT0_S3_S3_PS1_
	.p2align	8
	.type	_ZN9rocsparseL30gtsv_nopivot_pcr_shared_kernelILj32EdEEviiiPKT0_S3_S3_PS1_,@function
_ZN9rocsparseL30gtsv_nopivot_pcr_shared_kernelILj32EdEEviiiPKT0_S3_S3_PS1_: ; @_ZN9rocsparseL30gtsv_nopivot_pcr_shared_kernelILj32EdEEviiiPKT0_S3_S3_PS1_
; %bb.0:
	s_load_dword s7, s[4:5], 0x0
	v_mov_b32_e32 v1, 0
	v_mov_b32_e32 v3, 0
	;; [unrolled: 1-line block ×4, first 2 shown]
	s_waitcnt lgkmcnt(0)
	v_cmp_gt_i32_e64 s[0:1], s7, v0
	v_lshlrev_b32_e32 v7, 3, v0
	s_and_saveexec_b64 s[2:3], s[0:1]
	s_cbranch_execz .LBB37_2
; %bb.1:
	s_load_dwordx2 s[8:9], s[4:5], 0x10
	s_waitcnt lgkmcnt(0)
	global_load_dwordx2 v[3:4], v7, s[8:9]
.LBB37_2:
	s_or_b64 exec, exec, s[2:3]
	s_waitcnt vmcnt(0)
	ds_write_b64 v7, v[3:4]
	s_and_saveexec_b64 s[2:3], s[0:1]
	s_cbranch_execz .LBB37_4
; %bb.3:
	s_load_dwordx2 s[8:9], s[4:5], 0x18
	s_waitcnt lgkmcnt(0)
	global_load_dwordx2 v[1:2], v7, s[8:9]
.LBB37_4:
	s_or_b64 exec, exec, s[2:3]
	s_load_dwordx2 s[2:3], s[4:5], 0x28
	v_mov_b32_e32 v3, 0
	v_mov_b32_e32 v5, 0
	;; [unrolled: 1-line block ×4, first 2 shown]
	s_waitcnt vmcnt(0)
	ds_write_b64 v7, v[1:2] offset:256
	s_and_saveexec_b64 s[8:9], s[0:1]
	s_cbranch_execz .LBB37_6
; %bb.5:
	s_load_dwordx2 s[10:11], s[4:5], 0x20
	s_waitcnt lgkmcnt(0)
	global_load_dwordx2 v[5:6], v7, s[10:11]
.LBB37_6:
	s_or_b64 exec, exec, s[8:9]
	s_load_dword s4, s[4:5], 0x8
	v_or_b32_e32 v8, 0x100, v7
	v_or_b32_e32 v9, 0x200, v7
	s_waitcnt vmcnt(0)
	ds_write_b64 v7, v[5:6] offset:512
	s_waitcnt lgkmcnt(0)
	s_mul_i32 s4, s4, s6
	v_add_u32_e32 v1, s4, v0
	s_and_saveexec_b64 s[4:5], s[0:1]
	s_cbranch_execz .LBB37_8
; %bb.7:
	v_mov_b32_e32 v2, 0
	v_lshlrev_b64 v[2:3], 3, v[1:2]
	v_mov_b32_e32 v4, s3
	v_add_co_u32_e32 v2, vcc, s2, v2
	v_addc_co_u32_e32 v3, vcc, v4, v3, vcc
	global_load_dwordx2 v[3:4], v[2:3], off
.LBB37_8:
	s_or_b64 exec, exec, s[4:5]
	s_add_i32 s4, s7, -1
	v_add_u32_e32 v2, 1, v0
	v_min_i32_e32 v6, s4, v2
	v_sub_u32_e64 v2, v0, 1 clamp
	v_lshlrev_b32_e32 v24, 3, v2
	s_waitcnt vmcnt(0)
	ds_write_b64 v7, v[3:4] offset:1024
	s_waitcnt lgkmcnt(0)
	; wave barrier
	ds_read_b64 v[10:11], v7
	ds_read2_b64 v[2:5], v24 offset1:32
	v_lshlrev_b32_e32 v6, 3, v6
	s_waitcnt lgkmcnt(0)
	v_div_scale_f64 v[12:13], s[8:9], v[4:5], v[4:5], v[10:11]
	v_rcp_f64_e32 v[14:15], v[12:13]
	v_fma_f64 v[16:17], -v[12:13], v[14:15], 1.0
	v_fma_f64 v[14:15], v[14:15], v[16:17], v[14:15]
	v_fma_f64 v[16:17], -v[12:13], v[14:15], 1.0
	v_fma_f64 v[14:15], v[14:15], v[16:17], v[14:15]
	v_div_scale_f64 v[16:17], vcc, v[10:11], v[4:5], v[10:11]
	v_mul_f64 v[18:19], v[16:17], v[14:15]
	v_fma_f64 v[12:13], -v[12:13], v[18:19], v[16:17]
	s_nop 1
	v_div_fmas_f64 v[12:13], v[12:13], v[14:15], v[18:19]
	ds_read_b64 v[14:15], v9
	v_div_fixup_f64 v[4:5], v[12:13], v[4:5], v[10:11]
	ds_read2_b64 v[10:13], v6 offset1:32
	s_waitcnt lgkmcnt(0)
	v_div_scale_f64 v[16:17], s[8:9], v[12:13], v[12:13], v[14:15]
	v_mul_f64 v[2:3], v[4:5], -v[2:3]
	v_rcp_f64_e32 v[18:19], v[16:17]
	v_fma_f64 v[20:21], -v[16:17], v[18:19], 1.0
	v_fma_f64 v[18:19], v[18:19], v[20:21], v[18:19]
	v_fma_f64 v[20:21], -v[16:17], v[18:19], 1.0
	v_fma_f64 v[18:19], v[18:19], v[20:21], v[18:19]
	v_div_scale_f64 v[20:21], vcc, v[14:15], v[12:13], v[14:15]
	v_mul_f64 v[22:23], v[20:21], v[18:19]
	v_fma_f64 v[16:17], -v[16:17], v[22:23], v[20:21]
	s_nop 1
	v_div_fmas_f64 v[16:17], v[16:17], v[18:19], v[22:23]
	v_div_fixup_f64 v[16:17], v[16:17], v[12:13], v[14:15]
	ds_read_b64 v[18:19], v8
	ds_read2st64_b64 v[12:15], v24 offset0:1 offset1:2
	s_waitcnt lgkmcnt(0)
	v_fma_f64 v[12:13], -v[4:5], v[12:13], v[18:19]
	v_fma_f64 v[18:19], -v[16:17], v[10:11], v[12:13]
	ds_read_b64 v[10:11], v7 offset:1024
	s_waitcnt lgkmcnt(0)
	v_fma_f64 v[14:15], -v[4:5], v[14:15], v[10:11]
	ds_read2st64_b64 v[10:13], v6 offset0:1 offset1:2
	s_waitcnt lgkmcnt(0)
	; wave barrier
	v_mul_f64 v[4:5], v[16:17], -v[10:11]
	v_fma_f64 v[12:13], -v[16:17], v[12:13], v[14:15]
	ds_write_b64 v8, v[18:19]
	ds_write_b64 v7, v[12:13] offset:1024
	ds_write_b64 v7, v[2:3]
	ds_write_b64 v9, v[4:5]
	v_add_u32_e32 v2, 2, v0
	v_min_i32_e32 v6, s4, v2
	v_sub_u32_e64 v2, v0, 2 clamp
	v_lshlrev_b32_e32 v24, 3, v2
	s_waitcnt lgkmcnt(0)
	; wave barrier
	ds_read_b64 v[10:11], v7
	ds_read2_b64 v[2:5], v24 offset1:32
	v_lshlrev_b32_e32 v6, 3, v6
	s_waitcnt lgkmcnt(0)
	v_div_scale_f64 v[12:13], s[8:9], v[4:5], v[4:5], v[10:11]
	v_rcp_f64_e32 v[14:15], v[12:13]
	v_fma_f64 v[16:17], -v[12:13], v[14:15], 1.0
	v_fma_f64 v[14:15], v[14:15], v[16:17], v[14:15]
	v_fma_f64 v[16:17], -v[12:13], v[14:15], 1.0
	v_fma_f64 v[14:15], v[14:15], v[16:17], v[14:15]
	v_div_scale_f64 v[16:17], vcc, v[10:11], v[4:5], v[10:11]
	v_mul_f64 v[18:19], v[16:17], v[14:15]
	v_fma_f64 v[12:13], -v[12:13], v[18:19], v[16:17]
	s_nop 1
	v_div_fmas_f64 v[12:13], v[12:13], v[14:15], v[18:19]
	ds_read_b64 v[14:15], v9
	v_div_fixup_f64 v[4:5], v[12:13], v[4:5], v[10:11]
	ds_read2_b64 v[10:13], v6 offset1:32
	s_waitcnt lgkmcnt(0)
	v_div_scale_f64 v[16:17], s[8:9], v[12:13], v[12:13], v[14:15]
	v_mul_f64 v[2:3], v[4:5], -v[2:3]
	v_rcp_f64_e32 v[18:19], v[16:17]
	v_fma_f64 v[20:21], -v[16:17], v[18:19], 1.0
	v_fma_f64 v[18:19], v[18:19], v[20:21], v[18:19]
	v_fma_f64 v[20:21], -v[16:17], v[18:19], 1.0
	v_fma_f64 v[18:19], v[18:19], v[20:21], v[18:19]
	v_div_scale_f64 v[20:21], vcc, v[14:15], v[12:13], v[14:15]
	v_mul_f64 v[22:23], v[20:21], v[18:19]
	v_fma_f64 v[16:17], -v[16:17], v[22:23], v[20:21]
	s_nop 1
	v_div_fmas_f64 v[16:17], v[16:17], v[18:19], v[22:23]
	v_div_fixup_f64 v[16:17], v[16:17], v[12:13], v[14:15]
	ds_read_b64 v[18:19], v8
	ds_read2st64_b64 v[12:15], v24 offset0:1 offset1:2
	s_waitcnt lgkmcnt(0)
	v_fma_f64 v[12:13], -v[4:5], v[12:13], v[18:19]
	v_fma_f64 v[18:19], -v[16:17], v[10:11], v[12:13]
	ds_read_b64 v[10:11], v7 offset:1024
	s_waitcnt lgkmcnt(0)
	v_fma_f64 v[14:15], -v[4:5], v[14:15], v[10:11]
	ds_read2st64_b64 v[10:13], v6 offset0:1 offset1:2
	s_waitcnt lgkmcnt(0)
	; wave barrier
	v_mul_f64 v[4:5], v[16:17], -v[10:11]
	v_fma_f64 v[12:13], -v[16:17], v[12:13], v[14:15]
	ds_write_b64 v8, v[18:19]
	ds_write_b64 v7, v[12:13] offset:1024
	ds_write_b64 v7, v[2:3]
	ds_write_b64 v9, v[4:5]
	v_add_u32_e32 v2, 4, v0
	v_min_i32_e32 v6, s4, v2
	v_sub_u32_e64 v2, v0, 4 clamp
	v_lshlrev_b32_e32 v24, 3, v2
	;; [unrolled: 55-line block ×3, first 2 shown]
	s_waitcnt lgkmcnt(0)
	; wave barrier
	ds_read_b64 v[10:11], v7
	ds_read2_b64 v[2:5], v24 offset1:32
	v_lshlrev_b32_e32 v6, 3, v6
	s_waitcnt lgkmcnt(0)
	v_div_scale_f64 v[12:13], s[4:5], v[4:5], v[4:5], v[10:11]
	v_rcp_f64_e32 v[14:15], v[12:13]
	v_fma_f64 v[16:17], -v[12:13], v[14:15], 1.0
	v_fma_f64 v[14:15], v[14:15], v[16:17], v[14:15]
	v_fma_f64 v[16:17], -v[12:13], v[14:15], 1.0
	v_fma_f64 v[14:15], v[14:15], v[16:17], v[14:15]
	v_div_scale_f64 v[16:17], vcc, v[10:11], v[4:5], v[10:11]
	v_mul_f64 v[18:19], v[16:17], v[14:15]
	v_fma_f64 v[12:13], -v[12:13], v[18:19], v[16:17]
	s_nop 1
	v_div_fmas_f64 v[12:13], v[12:13], v[14:15], v[18:19]
	ds_read_b64 v[14:15], v9
	v_div_fixup_f64 v[4:5], v[12:13], v[4:5], v[10:11]
	ds_read2_b64 v[10:13], v6 offset1:32
	s_waitcnt lgkmcnt(0)
	v_div_scale_f64 v[16:17], s[4:5], v[12:13], v[12:13], v[14:15]
	v_mul_f64 v[2:3], v[4:5], -v[2:3]
	v_rcp_f64_e32 v[18:19], v[16:17]
	v_fma_f64 v[20:21], -v[16:17], v[18:19], 1.0
	v_fma_f64 v[18:19], v[18:19], v[20:21], v[18:19]
	v_fma_f64 v[20:21], -v[16:17], v[18:19], 1.0
	v_fma_f64 v[18:19], v[18:19], v[20:21], v[18:19]
	v_div_scale_f64 v[20:21], vcc, v[14:15], v[12:13], v[14:15]
	v_mul_f64 v[22:23], v[20:21], v[18:19]
	v_fma_f64 v[16:17], -v[16:17], v[22:23], v[20:21]
	s_nop 1
	v_div_fmas_f64 v[16:17], v[16:17], v[18:19], v[22:23]
	v_cmp_gt_u32_e32 vcc, 16, v0
	v_div_fixup_f64 v[16:17], v[16:17], v[12:13], v[14:15]
	ds_read_b64 v[18:19], v8
	ds_read2st64_b64 v[12:15], v24 offset0:1 offset1:2
	s_waitcnt lgkmcnt(0)
	v_fma_f64 v[12:13], -v[4:5], v[12:13], v[18:19]
	v_fma_f64 v[18:19], -v[16:17], v[10:11], v[12:13]
	ds_read_b64 v[10:11], v7 offset:1024
	s_waitcnt lgkmcnt(0)
	v_fma_f64 v[14:15], -v[4:5], v[14:15], v[10:11]
	ds_read2st64_b64 v[10:13], v6 offset0:1 offset1:2
	s_waitcnt lgkmcnt(0)
	; wave barrier
	v_mul_f64 v[4:5], v[16:17], -v[10:11]
	v_fma_f64 v[12:13], -v[16:17], v[12:13], v[14:15]
	ds_write_b64 v8, v[18:19]
	ds_write_b64 v7, v[12:13] offset:1024
	ds_write_b64 v7, v[2:3]
	ds_write_b64 v9, v[4:5]
	s_waitcnt lgkmcnt(0)
	; wave barrier
	s_and_saveexec_b64 s[4:5], vcc
	s_cbranch_execz .LBB37_14
; %bb.9:
	v_or_b32_e32 v4, 16, v0
	v_or_b32_e32 v5, 0x400, v7
	v_cmp_le_i32_e32 vcc, s7, v4
                                        ; implicit-def: $vgpr2_vgpr3
	s_and_saveexec_b64 s[6:7], vcc
	s_xor_b64 s[6:7], exec, s[6:7]
	s_cbranch_execz .LBB37_11
; %bb.10:
	ds_read_b64 v[2:3], v5
	ds_read_b64 v[4:5], v8
	s_waitcnt lgkmcnt(0)
	v_div_scale_f64 v[8:9], s[8:9], v[4:5], v[4:5], v[2:3]
	v_div_scale_f64 v[14:15], vcc, v[2:3], v[4:5], v[2:3]
	v_rcp_f64_e32 v[10:11], v[8:9]
	v_fma_f64 v[12:13], -v[8:9], v[10:11], 1.0
	v_fma_f64 v[10:11], v[10:11], v[12:13], v[10:11]
	v_fma_f64 v[12:13], -v[8:9], v[10:11], 1.0
	v_fma_f64 v[10:11], v[10:11], v[12:13], v[10:11]
	v_mul_f64 v[12:13], v[14:15], v[10:11]
	v_fma_f64 v[8:9], -v[8:9], v[12:13], v[14:15]
	v_div_fmas_f64 v[8:9], v[8:9], v[10:11], v[12:13]
	v_div_fixup_f64 v[2:3], v[8:9], v[4:5], v[2:3]
                                        ; implicit-def: $vgpr8
                                        ; implicit-def: $vgpr9
                                        ; implicit-def: $vgpr5
                                        ; implicit-def: $vgpr4
.LBB37_11:
	s_andn2_saveexec_b64 s[6:7], s[6:7]
	s_cbranch_execz .LBB37_13
; %bb.12:
	ds_read_b64 v[2:3], v9
	ds_read_b64 v[16:17], v7 offset:128
	ds_read2_b64 v[8:11], v8 offset1:16
	v_mov_b32_e32 v0, v4
	s_waitcnt lgkmcnt(1)
	v_mul_f64 v[12:13], v[2:3], v[16:17]
	s_waitcnt lgkmcnt(0)
	v_fma_f64 v[18:19], v[10:11], v[8:9], -v[12:13]
	v_div_scale_f64 v[12:13], s[8:9], v[18:19], v[18:19], 1.0
	v_rcp_f64_e32 v[14:15], v[12:13]
	v_fma_f64 v[20:21], -v[12:13], v[14:15], 1.0
	v_fma_f64 v[14:15], v[14:15], v[20:21], v[14:15]
	v_div_scale_f64 v[20:21], vcc, 1.0, v[18:19], 1.0
	v_fma_f64 v[22:23], -v[12:13], v[14:15], 1.0
	v_fma_f64 v[14:15], v[14:15], v[22:23], v[14:15]
	v_mul_f64 v[22:23], v[20:21], v[14:15]
	v_fma_f64 v[12:13], -v[12:13], v[22:23], v[20:21]
	v_div_fmas_f64 v[20:21], v[12:13], v[14:15], v[22:23]
	ds_read2_b64 v[12:15], v5 offset1:16
	s_waitcnt lgkmcnt(0)
	v_mul_f64 v[2:3], v[2:3], v[14:15]
	v_mul_f64 v[5:6], v[16:17], v[12:13]
	v_fma_f64 v[2:3], v[10:11], v[12:13], -v[2:3]
	v_fma_f64 v[5:6], v[8:9], v[14:15], -v[5:6]
	v_div_fixup_f64 v[10:11], v[20:21], v[18:19], 1.0
	v_mul_f64 v[8:9], v[10:11], v[2:3]
	v_mul_f64 v[2:3], v[10:11], v[5:6]
	ds_write_b64 v7, v[8:9] offset:768
.LBB37_13:
	s_or_b64 exec, exec, s[6:7]
	v_lshlrev_b32_e32 v0, 3, v0
	ds_write_b64 v0, v[2:3] offset:768
.LBB37_14:
	s_or_b64 exec, exec, s[4:5]
	s_waitcnt lgkmcnt(0)
	; wave barrier
	s_and_saveexec_b64 s[4:5], s[0:1]
	s_cbranch_execz .LBB37_16
; %bb.15:
	v_mov_b32_e32 v2, 0
	v_lshlrev_b64 v[0:1], 3, v[1:2]
	ds_read_b64 v[2:3], v7 offset:768
	v_mov_b32_e32 v4, s3
	v_add_co_u32_e32 v0, vcc, s2, v0
	v_addc_co_u32_e32 v1, vcc, v4, v1, vcc
	s_waitcnt lgkmcnt(0)
	global_store_dwordx2 v[0:1], v[2:3], off
.LBB37_16:
	s_endpgm
	.section	.rodata,"a",@progbits
	.p2align	6, 0x0
	.amdhsa_kernel _ZN9rocsparseL30gtsv_nopivot_pcr_shared_kernelILj32EdEEviiiPKT0_S3_S3_PS1_
		.amdhsa_group_segment_fixed_size 1280
		.amdhsa_private_segment_fixed_size 0
		.amdhsa_kernarg_size 48
		.amdhsa_user_sgpr_count 6
		.amdhsa_user_sgpr_private_segment_buffer 1
		.amdhsa_user_sgpr_dispatch_ptr 0
		.amdhsa_user_sgpr_queue_ptr 0
		.amdhsa_user_sgpr_kernarg_segment_ptr 1
		.amdhsa_user_sgpr_dispatch_id 0
		.amdhsa_user_sgpr_flat_scratch_init 0
		.amdhsa_user_sgpr_private_segment_size 0
		.amdhsa_uses_dynamic_stack 0
		.amdhsa_system_sgpr_private_segment_wavefront_offset 0
		.amdhsa_system_sgpr_workgroup_id_x 1
		.amdhsa_system_sgpr_workgroup_id_y 0
		.amdhsa_system_sgpr_workgroup_id_z 0
		.amdhsa_system_sgpr_workgroup_info 0
		.amdhsa_system_vgpr_workitem_id 0
		.amdhsa_next_free_vgpr 25
		.amdhsa_next_free_sgpr 12
		.amdhsa_reserve_vcc 1
		.amdhsa_reserve_flat_scratch 0
		.amdhsa_float_round_mode_32 0
		.amdhsa_float_round_mode_16_64 0
		.amdhsa_float_denorm_mode_32 3
		.amdhsa_float_denorm_mode_16_64 3
		.amdhsa_dx10_clamp 1
		.amdhsa_ieee_mode 1
		.amdhsa_fp16_overflow 0
		.amdhsa_exception_fp_ieee_invalid_op 0
		.amdhsa_exception_fp_denorm_src 0
		.amdhsa_exception_fp_ieee_div_zero 0
		.amdhsa_exception_fp_ieee_overflow 0
		.amdhsa_exception_fp_ieee_underflow 0
		.amdhsa_exception_fp_ieee_inexact 0
		.amdhsa_exception_int_div_zero 0
	.end_amdhsa_kernel
	.section	.text._ZN9rocsparseL30gtsv_nopivot_pcr_shared_kernelILj32EdEEviiiPKT0_S3_S3_PS1_,"axG",@progbits,_ZN9rocsparseL30gtsv_nopivot_pcr_shared_kernelILj32EdEEviiiPKT0_S3_S3_PS1_,comdat
.Lfunc_end37:
	.size	_ZN9rocsparseL30gtsv_nopivot_pcr_shared_kernelILj32EdEEviiiPKT0_S3_S3_PS1_, .Lfunc_end37-_ZN9rocsparseL30gtsv_nopivot_pcr_shared_kernelILj32EdEEviiiPKT0_S3_S3_PS1_
                                        ; -- End function
	.set _ZN9rocsparseL30gtsv_nopivot_pcr_shared_kernelILj32EdEEviiiPKT0_S3_S3_PS1_.num_vgpr, 25
	.set _ZN9rocsparseL30gtsv_nopivot_pcr_shared_kernelILj32EdEEviiiPKT0_S3_S3_PS1_.num_agpr, 0
	.set _ZN9rocsparseL30gtsv_nopivot_pcr_shared_kernelILj32EdEEviiiPKT0_S3_S3_PS1_.numbered_sgpr, 12
	.set _ZN9rocsparseL30gtsv_nopivot_pcr_shared_kernelILj32EdEEviiiPKT0_S3_S3_PS1_.num_named_barrier, 0
	.set _ZN9rocsparseL30gtsv_nopivot_pcr_shared_kernelILj32EdEEviiiPKT0_S3_S3_PS1_.private_seg_size, 0
	.set _ZN9rocsparseL30gtsv_nopivot_pcr_shared_kernelILj32EdEEviiiPKT0_S3_S3_PS1_.uses_vcc, 1
	.set _ZN9rocsparseL30gtsv_nopivot_pcr_shared_kernelILj32EdEEviiiPKT0_S3_S3_PS1_.uses_flat_scratch, 0
	.set _ZN9rocsparseL30gtsv_nopivot_pcr_shared_kernelILj32EdEEviiiPKT0_S3_S3_PS1_.has_dyn_sized_stack, 0
	.set _ZN9rocsparseL30gtsv_nopivot_pcr_shared_kernelILj32EdEEviiiPKT0_S3_S3_PS1_.has_recursion, 0
	.set _ZN9rocsparseL30gtsv_nopivot_pcr_shared_kernelILj32EdEEviiiPKT0_S3_S3_PS1_.has_indirect_call, 0
	.section	.AMDGPU.csdata,"",@progbits
; Kernel info:
; codeLenInByte = 2204
; TotalNumSgprs: 16
; NumVgprs: 25
; ScratchSize: 0
; MemoryBound: 0
; FloatMode: 240
; IeeeMode: 1
; LDSByteSize: 1280 bytes/workgroup (compile time only)
; SGPRBlocks: 1
; VGPRBlocks: 6
; NumSGPRsForWavesPerEU: 16
; NumVGPRsForWavesPerEU: 25
; Occupancy: 9
; WaveLimiterHint : 0
; COMPUTE_PGM_RSRC2:SCRATCH_EN: 0
; COMPUTE_PGM_RSRC2:USER_SGPR: 6
; COMPUTE_PGM_RSRC2:TRAP_HANDLER: 0
; COMPUTE_PGM_RSRC2:TGID_X_EN: 1
; COMPUTE_PGM_RSRC2:TGID_Y_EN: 0
; COMPUTE_PGM_RSRC2:TGID_Z_EN: 0
; COMPUTE_PGM_RSRC2:TIDIG_COMP_CNT: 0
	.section	.text._ZN9rocsparseL30gtsv_nopivot_pcr_shared_kernelILj64EdEEviiiPKT0_S3_S3_PS1_,"axG",@progbits,_ZN9rocsparseL30gtsv_nopivot_pcr_shared_kernelILj64EdEEviiiPKT0_S3_S3_PS1_,comdat
	.globl	_ZN9rocsparseL30gtsv_nopivot_pcr_shared_kernelILj64EdEEviiiPKT0_S3_S3_PS1_ ; -- Begin function _ZN9rocsparseL30gtsv_nopivot_pcr_shared_kernelILj64EdEEviiiPKT0_S3_S3_PS1_
	.p2align	8
	.type	_ZN9rocsparseL30gtsv_nopivot_pcr_shared_kernelILj64EdEEviiiPKT0_S3_S3_PS1_,@function
_ZN9rocsparseL30gtsv_nopivot_pcr_shared_kernelILj64EdEEviiiPKT0_S3_S3_PS1_: ; @_ZN9rocsparseL30gtsv_nopivot_pcr_shared_kernelILj64EdEEviiiPKT0_S3_S3_PS1_
; %bb.0:
	s_load_dword s7, s[4:5], 0x0
	v_mov_b32_e32 v1, 0
	v_mov_b32_e32 v3, 0
	;; [unrolled: 1-line block ×4, first 2 shown]
	s_waitcnt lgkmcnt(0)
	v_cmp_gt_i32_e64 s[0:1], s7, v0
	v_lshlrev_b32_e32 v7, 3, v0
	s_and_saveexec_b64 s[2:3], s[0:1]
	s_cbranch_execz .LBB38_2
; %bb.1:
	s_load_dwordx2 s[8:9], s[4:5], 0x10
	s_waitcnt lgkmcnt(0)
	global_load_dwordx2 v[3:4], v7, s[8:9]
.LBB38_2:
	s_or_b64 exec, exec, s[2:3]
	s_waitcnt vmcnt(0)
	ds_write_b64 v7, v[3:4]
	s_and_saveexec_b64 s[2:3], s[0:1]
	s_cbranch_execz .LBB38_4
; %bb.3:
	s_load_dwordx2 s[8:9], s[4:5], 0x18
	s_waitcnt lgkmcnt(0)
	global_load_dwordx2 v[1:2], v7, s[8:9]
.LBB38_4:
	s_or_b64 exec, exec, s[2:3]
	s_load_dwordx2 s[2:3], s[4:5], 0x28
	v_mov_b32_e32 v3, 0
	v_mov_b32_e32 v5, 0
	;; [unrolled: 1-line block ×4, first 2 shown]
	s_waitcnt vmcnt(0)
	ds_write_b64 v7, v[1:2] offset:512
	s_and_saveexec_b64 s[8:9], s[0:1]
	s_cbranch_execz .LBB38_6
; %bb.5:
	s_load_dwordx2 s[10:11], s[4:5], 0x20
	s_waitcnt lgkmcnt(0)
	global_load_dwordx2 v[5:6], v7, s[10:11]
.LBB38_6:
	s_or_b64 exec, exec, s[8:9]
	s_load_dword s4, s[4:5], 0x8
	v_or_b32_e32 v8, 0x200, v7
	v_or_b32_e32 v9, 0x400, v7
	s_waitcnt vmcnt(0)
	ds_write_b64 v7, v[5:6] offset:1024
	s_waitcnt lgkmcnt(0)
	s_mul_i32 s4, s4, s6
	v_add_u32_e32 v1, s4, v0
	s_and_saveexec_b64 s[4:5], s[0:1]
	s_cbranch_execz .LBB38_8
; %bb.7:
	v_mov_b32_e32 v2, 0
	v_lshlrev_b64 v[2:3], 3, v[1:2]
	v_mov_b32_e32 v4, s3
	v_add_co_u32_e32 v2, vcc, s2, v2
	v_addc_co_u32_e32 v3, vcc, v4, v3, vcc
	global_load_dwordx2 v[3:4], v[2:3], off
.LBB38_8:
	s_or_b64 exec, exec, s[4:5]
	s_add_i32 s4, s7, -1
	v_add_u32_e32 v2, 1, v0
	v_min_i32_e32 v6, s4, v2
	v_sub_u32_e64 v2, v0, 1 clamp
	v_lshlrev_b32_e32 v24, 3, v2
	s_waitcnt vmcnt(0)
	ds_write_b64 v7, v[3:4] offset:2048
	s_waitcnt lgkmcnt(0)
	; wave barrier
	ds_read_b64 v[10:11], v7
	ds_read2st64_b64 v[2:5], v24 offset1:1
	v_lshlrev_b32_e32 v6, 3, v6
	s_waitcnt lgkmcnt(0)
	v_div_scale_f64 v[12:13], s[8:9], v[4:5], v[4:5], v[10:11]
	v_rcp_f64_e32 v[14:15], v[12:13]
	v_fma_f64 v[16:17], -v[12:13], v[14:15], 1.0
	v_fma_f64 v[14:15], v[14:15], v[16:17], v[14:15]
	v_fma_f64 v[16:17], -v[12:13], v[14:15], 1.0
	v_fma_f64 v[14:15], v[14:15], v[16:17], v[14:15]
	v_div_scale_f64 v[16:17], vcc, v[10:11], v[4:5], v[10:11]
	v_mul_f64 v[18:19], v[16:17], v[14:15]
	v_fma_f64 v[12:13], -v[12:13], v[18:19], v[16:17]
	s_nop 1
	v_div_fmas_f64 v[12:13], v[12:13], v[14:15], v[18:19]
	ds_read_b64 v[14:15], v9
	v_div_fixup_f64 v[4:5], v[12:13], v[4:5], v[10:11]
	ds_read2st64_b64 v[10:13], v6 offset1:1
	s_waitcnt lgkmcnt(0)
	v_div_scale_f64 v[16:17], s[8:9], v[12:13], v[12:13], v[14:15]
	v_mul_f64 v[2:3], v[4:5], -v[2:3]
	v_rcp_f64_e32 v[18:19], v[16:17]
	v_fma_f64 v[20:21], -v[16:17], v[18:19], 1.0
	v_fma_f64 v[18:19], v[18:19], v[20:21], v[18:19]
	v_fma_f64 v[20:21], -v[16:17], v[18:19], 1.0
	v_fma_f64 v[18:19], v[18:19], v[20:21], v[18:19]
	v_div_scale_f64 v[20:21], vcc, v[14:15], v[12:13], v[14:15]
	v_mul_f64 v[22:23], v[20:21], v[18:19]
	v_fma_f64 v[16:17], -v[16:17], v[22:23], v[20:21]
	s_nop 1
	v_div_fmas_f64 v[16:17], v[16:17], v[18:19], v[22:23]
	v_div_fixup_f64 v[16:17], v[16:17], v[12:13], v[14:15]
	ds_read_b64 v[18:19], v8
	ds_read2st64_b64 v[12:15], v24 offset0:2 offset1:4
	s_waitcnt lgkmcnt(0)
	v_fma_f64 v[12:13], -v[4:5], v[12:13], v[18:19]
	v_fma_f64 v[18:19], -v[16:17], v[10:11], v[12:13]
	ds_read_b64 v[10:11], v7 offset:2048
	s_waitcnt lgkmcnt(0)
	v_fma_f64 v[14:15], -v[4:5], v[14:15], v[10:11]
	ds_read2st64_b64 v[10:13], v6 offset0:2 offset1:4
	s_waitcnt lgkmcnt(0)
	; wave barrier
	v_mul_f64 v[4:5], v[16:17], -v[10:11]
	v_fma_f64 v[12:13], -v[16:17], v[12:13], v[14:15]
	ds_write_b64 v8, v[18:19]
	ds_write_b64 v7, v[12:13] offset:2048
	ds_write_b64 v7, v[2:3]
	ds_write_b64 v9, v[4:5]
	v_add_u32_e32 v2, 2, v0
	v_min_i32_e32 v6, s4, v2
	v_sub_u32_e64 v2, v0, 2 clamp
	v_lshlrev_b32_e32 v24, 3, v2
	s_waitcnt lgkmcnt(0)
	; wave barrier
	ds_read_b64 v[10:11], v7
	ds_read2st64_b64 v[2:5], v24 offset1:1
	v_lshlrev_b32_e32 v6, 3, v6
	s_waitcnt lgkmcnt(0)
	v_div_scale_f64 v[12:13], s[8:9], v[4:5], v[4:5], v[10:11]
	v_rcp_f64_e32 v[14:15], v[12:13]
	v_fma_f64 v[16:17], -v[12:13], v[14:15], 1.0
	v_fma_f64 v[14:15], v[14:15], v[16:17], v[14:15]
	v_fma_f64 v[16:17], -v[12:13], v[14:15], 1.0
	v_fma_f64 v[14:15], v[14:15], v[16:17], v[14:15]
	v_div_scale_f64 v[16:17], vcc, v[10:11], v[4:5], v[10:11]
	v_mul_f64 v[18:19], v[16:17], v[14:15]
	v_fma_f64 v[12:13], -v[12:13], v[18:19], v[16:17]
	s_nop 1
	v_div_fmas_f64 v[12:13], v[12:13], v[14:15], v[18:19]
	ds_read_b64 v[14:15], v9
	v_div_fixup_f64 v[4:5], v[12:13], v[4:5], v[10:11]
	ds_read2st64_b64 v[10:13], v6 offset1:1
	s_waitcnt lgkmcnt(0)
	v_div_scale_f64 v[16:17], s[8:9], v[12:13], v[12:13], v[14:15]
	v_mul_f64 v[2:3], v[4:5], -v[2:3]
	v_rcp_f64_e32 v[18:19], v[16:17]
	v_fma_f64 v[20:21], -v[16:17], v[18:19], 1.0
	v_fma_f64 v[18:19], v[18:19], v[20:21], v[18:19]
	v_fma_f64 v[20:21], -v[16:17], v[18:19], 1.0
	v_fma_f64 v[18:19], v[18:19], v[20:21], v[18:19]
	v_div_scale_f64 v[20:21], vcc, v[14:15], v[12:13], v[14:15]
	v_mul_f64 v[22:23], v[20:21], v[18:19]
	v_fma_f64 v[16:17], -v[16:17], v[22:23], v[20:21]
	s_nop 1
	v_div_fmas_f64 v[16:17], v[16:17], v[18:19], v[22:23]
	v_div_fixup_f64 v[16:17], v[16:17], v[12:13], v[14:15]
	ds_read_b64 v[18:19], v8
	ds_read2st64_b64 v[12:15], v24 offset0:2 offset1:4
	s_waitcnt lgkmcnt(0)
	v_fma_f64 v[12:13], -v[4:5], v[12:13], v[18:19]
	v_fma_f64 v[18:19], -v[16:17], v[10:11], v[12:13]
	ds_read_b64 v[10:11], v7 offset:2048
	s_waitcnt lgkmcnt(0)
	v_fma_f64 v[14:15], -v[4:5], v[14:15], v[10:11]
	ds_read2st64_b64 v[10:13], v6 offset0:2 offset1:4
	s_waitcnt lgkmcnt(0)
	; wave barrier
	v_mul_f64 v[4:5], v[16:17], -v[10:11]
	v_fma_f64 v[12:13], -v[16:17], v[12:13], v[14:15]
	ds_write_b64 v8, v[18:19]
	ds_write_b64 v7, v[12:13] offset:2048
	ds_write_b64 v7, v[2:3]
	ds_write_b64 v9, v[4:5]
	v_add_u32_e32 v2, 4, v0
	v_min_i32_e32 v6, s4, v2
	v_sub_u32_e64 v2, v0, 4 clamp
	v_lshlrev_b32_e32 v24, 3, v2
	;; [unrolled: 55-line block ×4, first 2 shown]
	s_waitcnt lgkmcnt(0)
	; wave barrier
	ds_read_b64 v[10:11], v7
	ds_read2st64_b64 v[2:5], v24 offset1:1
	v_lshlrev_b32_e32 v6, 3, v6
	s_waitcnt lgkmcnt(0)
	v_div_scale_f64 v[12:13], s[4:5], v[4:5], v[4:5], v[10:11]
	v_rcp_f64_e32 v[14:15], v[12:13]
	v_fma_f64 v[16:17], -v[12:13], v[14:15], 1.0
	v_fma_f64 v[14:15], v[14:15], v[16:17], v[14:15]
	v_fma_f64 v[16:17], -v[12:13], v[14:15], 1.0
	v_fma_f64 v[14:15], v[14:15], v[16:17], v[14:15]
	v_div_scale_f64 v[16:17], vcc, v[10:11], v[4:5], v[10:11]
	v_mul_f64 v[18:19], v[16:17], v[14:15]
	v_fma_f64 v[12:13], -v[12:13], v[18:19], v[16:17]
	s_nop 1
	v_div_fmas_f64 v[12:13], v[12:13], v[14:15], v[18:19]
	ds_read_b64 v[14:15], v9
	v_div_fixup_f64 v[4:5], v[12:13], v[4:5], v[10:11]
	ds_read2st64_b64 v[10:13], v6 offset1:1
	s_waitcnt lgkmcnt(0)
	v_div_scale_f64 v[16:17], s[4:5], v[12:13], v[12:13], v[14:15]
	v_mul_f64 v[2:3], v[4:5], -v[2:3]
	v_rcp_f64_e32 v[18:19], v[16:17]
	v_fma_f64 v[20:21], -v[16:17], v[18:19], 1.0
	v_fma_f64 v[18:19], v[18:19], v[20:21], v[18:19]
	v_fma_f64 v[20:21], -v[16:17], v[18:19], 1.0
	v_fma_f64 v[18:19], v[18:19], v[20:21], v[18:19]
	v_div_scale_f64 v[20:21], vcc, v[14:15], v[12:13], v[14:15]
	v_mul_f64 v[22:23], v[20:21], v[18:19]
	v_fma_f64 v[16:17], -v[16:17], v[22:23], v[20:21]
	s_nop 1
	v_div_fmas_f64 v[16:17], v[16:17], v[18:19], v[22:23]
	v_cmp_gt_u32_e32 vcc, 32, v0
	v_div_fixup_f64 v[16:17], v[16:17], v[12:13], v[14:15]
	ds_read_b64 v[18:19], v8
	ds_read2st64_b64 v[12:15], v24 offset0:2 offset1:4
	s_waitcnt lgkmcnt(0)
	v_fma_f64 v[12:13], -v[4:5], v[12:13], v[18:19]
	v_fma_f64 v[18:19], -v[16:17], v[10:11], v[12:13]
	ds_read_b64 v[10:11], v7 offset:2048
	s_waitcnt lgkmcnt(0)
	v_fma_f64 v[14:15], -v[4:5], v[14:15], v[10:11]
	ds_read2st64_b64 v[10:13], v6 offset0:2 offset1:4
	s_waitcnt lgkmcnt(0)
	; wave barrier
	v_mul_f64 v[4:5], v[16:17], -v[10:11]
	v_fma_f64 v[12:13], -v[16:17], v[12:13], v[14:15]
	ds_write_b64 v8, v[18:19]
	ds_write_b64 v7, v[12:13] offset:2048
	ds_write_b64 v7, v[2:3]
	ds_write_b64 v9, v[4:5]
	s_waitcnt lgkmcnt(0)
	; wave barrier
	s_and_saveexec_b64 s[4:5], vcc
	s_cbranch_execz .LBB38_14
; %bb.9:
	v_or_b32_e32 v4, 32, v0
	v_or_b32_e32 v5, 0x800, v7
	v_cmp_le_i32_e32 vcc, s7, v4
                                        ; implicit-def: $vgpr2_vgpr3
	s_and_saveexec_b64 s[6:7], vcc
	s_xor_b64 s[6:7], exec, s[6:7]
	s_cbranch_execz .LBB38_11
; %bb.10:
	ds_read_b64 v[2:3], v5
	ds_read_b64 v[4:5], v8
	s_waitcnt lgkmcnt(0)
	v_div_scale_f64 v[8:9], s[8:9], v[4:5], v[4:5], v[2:3]
	v_div_scale_f64 v[14:15], vcc, v[2:3], v[4:5], v[2:3]
	v_rcp_f64_e32 v[10:11], v[8:9]
	v_fma_f64 v[12:13], -v[8:9], v[10:11], 1.0
	v_fma_f64 v[10:11], v[10:11], v[12:13], v[10:11]
	v_fma_f64 v[12:13], -v[8:9], v[10:11], 1.0
	v_fma_f64 v[10:11], v[10:11], v[12:13], v[10:11]
	v_mul_f64 v[12:13], v[14:15], v[10:11]
	v_fma_f64 v[8:9], -v[8:9], v[12:13], v[14:15]
	v_div_fmas_f64 v[8:9], v[8:9], v[10:11], v[12:13]
	v_div_fixup_f64 v[2:3], v[8:9], v[4:5], v[2:3]
                                        ; implicit-def: $vgpr8
                                        ; implicit-def: $vgpr9
                                        ; implicit-def: $vgpr5
                                        ; implicit-def: $vgpr4
.LBB38_11:
	s_andn2_saveexec_b64 s[6:7], s[6:7]
	s_cbranch_execz .LBB38_13
; %bb.12:
	ds_read_b64 v[2:3], v9
	ds_read_b64 v[16:17], v7 offset:256
	ds_read2_b64 v[8:11], v8 offset1:32
	v_mov_b32_e32 v0, v4
	s_waitcnt lgkmcnt(1)
	v_mul_f64 v[12:13], v[2:3], v[16:17]
	s_waitcnt lgkmcnt(0)
	v_fma_f64 v[18:19], v[10:11], v[8:9], -v[12:13]
	v_div_scale_f64 v[12:13], s[8:9], v[18:19], v[18:19], 1.0
	v_rcp_f64_e32 v[14:15], v[12:13]
	v_fma_f64 v[20:21], -v[12:13], v[14:15], 1.0
	v_fma_f64 v[14:15], v[14:15], v[20:21], v[14:15]
	v_div_scale_f64 v[20:21], vcc, 1.0, v[18:19], 1.0
	v_fma_f64 v[22:23], -v[12:13], v[14:15], 1.0
	v_fma_f64 v[14:15], v[14:15], v[22:23], v[14:15]
	v_mul_f64 v[22:23], v[20:21], v[14:15]
	v_fma_f64 v[12:13], -v[12:13], v[22:23], v[20:21]
	v_div_fmas_f64 v[20:21], v[12:13], v[14:15], v[22:23]
	ds_read2_b64 v[12:15], v5 offset1:32
	s_waitcnt lgkmcnt(0)
	v_mul_f64 v[2:3], v[2:3], v[14:15]
	v_mul_f64 v[5:6], v[16:17], v[12:13]
	v_fma_f64 v[2:3], v[10:11], v[12:13], -v[2:3]
	v_fma_f64 v[5:6], v[8:9], v[14:15], -v[5:6]
	v_div_fixup_f64 v[10:11], v[20:21], v[18:19], 1.0
	v_mul_f64 v[8:9], v[10:11], v[2:3]
	v_mul_f64 v[2:3], v[10:11], v[5:6]
	ds_write_b64 v7, v[8:9] offset:1536
.LBB38_13:
	s_or_b64 exec, exec, s[6:7]
	v_lshlrev_b32_e32 v0, 3, v0
	ds_write_b64 v0, v[2:3] offset:1536
.LBB38_14:
	s_or_b64 exec, exec, s[4:5]
	s_waitcnt lgkmcnt(0)
	; wave barrier
	s_and_saveexec_b64 s[4:5], s[0:1]
	s_cbranch_execz .LBB38_16
; %bb.15:
	v_mov_b32_e32 v2, 0
	v_lshlrev_b64 v[0:1], 3, v[1:2]
	ds_read_b64 v[2:3], v7 offset:1536
	v_mov_b32_e32 v4, s3
	v_add_co_u32_e32 v0, vcc, s2, v0
	v_addc_co_u32_e32 v1, vcc, v4, v1, vcc
	s_waitcnt lgkmcnt(0)
	global_store_dwordx2 v[0:1], v[2:3], off
.LBB38_16:
	s_endpgm
	.section	.rodata,"a",@progbits
	.p2align	6, 0x0
	.amdhsa_kernel _ZN9rocsparseL30gtsv_nopivot_pcr_shared_kernelILj64EdEEviiiPKT0_S3_S3_PS1_
		.amdhsa_group_segment_fixed_size 2560
		.amdhsa_private_segment_fixed_size 0
		.amdhsa_kernarg_size 48
		.amdhsa_user_sgpr_count 6
		.amdhsa_user_sgpr_private_segment_buffer 1
		.amdhsa_user_sgpr_dispatch_ptr 0
		.amdhsa_user_sgpr_queue_ptr 0
		.amdhsa_user_sgpr_kernarg_segment_ptr 1
		.amdhsa_user_sgpr_dispatch_id 0
		.amdhsa_user_sgpr_flat_scratch_init 0
		.amdhsa_user_sgpr_private_segment_size 0
		.amdhsa_uses_dynamic_stack 0
		.amdhsa_system_sgpr_private_segment_wavefront_offset 0
		.amdhsa_system_sgpr_workgroup_id_x 1
		.amdhsa_system_sgpr_workgroup_id_y 0
		.amdhsa_system_sgpr_workgroup_id_z 0
		.amdhsa_system_sgpr_workgroup_info 0
		.amdhsa_system_vgpr_workitem_id 0
		.amdhsa_next_free_vgpr 33
		.amdhsa_next_free_sgpr 77
		.amdhsa_reserve_vcc 1
		.amdhsa_reserve_flat_scratch 0
		.amdhsa_float_round_mode_32 0
		.amdhsa_float_round_mode_16_64 0
		.amdhsa_float_denorm_mode_32 3
		.amdhsa_float_denorm_mode_16_64 3
		.amdhsa_dx10_clamp 1
		.amdhsa_ieee_mode 1
		.amdhsa_fp16_overflow 0
		.amdhsa_exception_fp_ieee_invalid_op 0
		.amdhsa_exception_fp_denorm_src 0
		.amdhsa_exception_fp_ieee_div_zero 0
		.amdhsa_exception_fp_ieee_overflow 0
		.amdhsa_exception_fp_ieee_underflow 0
		.amdhsa_exception_fp_ieee_inexact 0
		.amdhsa_exception_int_div_zero 0
	.end_amdhsa_kernel
	.section	.text._ZN9rocsparseL30gtsv_nopivot_pcr_shared_kernelILj64EdEEviiiPKT0_S3_S3_PS1_,"axG",@progbits,_ZN9rocsparseL30gtsv_nopivot_pcr_shared_kernelILj64EdEEviiiPKT0_S3_S3_PS1_,comdat
.Lfunc_end38:
	.size	_ZN9rocsparseL30gtsv_nopivot_pcr_shared_kernelILj64EdEEviiiPKT0_S3_S3_PS1_, .Lfunc_end38-_ZN9rocsparseL30gtsv_nopivot_pcr_shared_kernelILj64EdEEviiiPKT0_S3_S3_PS1_
                                        ; -- End function
	.set _ZN9rocsparseL30gtsv_nopivot_pcr_shared_kernelILj64EdEEviiiPKT0_S3_S3_PS1_.num_vgpr, 25
	.set _ZN9rocsparseL30gtsv_nopivot_pcr_shared_kernelILj64EdEEviiiPKT0_S3_S3_PS1_.num_agpr, 0
	.set _ZN9rocsparseL30gtsv_nopivot_pcr_shared_kernelILj64EdEEviiiPKT0_S3_S3_PS1_.numbered_sgpr, 12
	.set _ZN9rocsparseL30gtsv_nopivot_pcr_shared_kernelILj64EdEEviiiPKT0_S3_S3_PS1_.num_named_barrier, 0
	.set _ZN9rocsparseL30gtsv_nopivot_pcr_shared_kernelILj64EdEEviiiPKT0_S3_S3_PS1_.private_seg_size, 0
	.set _ZN9rocsparseL30gtsv_nopivot_pcr_shared_kernelILj64EdEEviiiPKT0_S3_S3_PS1_.uses_vcc, 1
	.set _ZN9rocsparseL30gtsv_nopivot_pcr_shared_kernelILj64EdEEviiiPKT0_S3_S3_PS1_.uses_flat_scratch, 0
	.set _ZN9rocsparseL30gtsv_nopivot_pcr_shared_kernelILj64EdEEviiiPKT0_S3_S3_PS1_.has_dyn_sized_stack, 0
	.set _ZN9rocsparseL30gtsv_nopivot_pcr_shared_kernelILj64EdEEviiiPKT0_S3_S3_PS1_.has_recursion, 0
	.set _ZN9rocsparseL30gtsv_nopivot_pcr_shared_kernelILj64EdEEviiiPKT0_S3_S3_PS1_.has_indirect_call, 0
	.section	.AMDGPU.csdata,"",@progbits
; Kernel info:
; codeLenInByte = 2572
; TotalNumSgprs: 16
; NumVgprs: 25
; ScratchSize: 0
; MemoryBound: 0
; FloatMode: 240
; IeeeMode: 1
; LDSByteSize: 2560 bytes/workgroup (compile time only)
; SGPRBlocks: 10
; VGPRBlocks: 8
; NumSGPRsForWavesPerEU: 81
; NumVGPRsForWavesPerEU: 33
; Occupancy: 7
; WaveLimiterHint : 0
; COMPUTE_PGM_RSRC2:SCRATCH_EN: 0
; COMPUTE_PGM_RSRC2:USER_SGPR: 6
; COMPUTE_PGM_RSRC2:TRAP_HANDLER: 0
; COMPUTE_PGM_RSRC2:TGID_X_EN: 1
; COMPUTE_PGM_RSRC2:TGID_Y_EN: 0
; COMPUTE_PGM_RSRC2:TGID_Z_EN: 0
; COMPUTE_PGM_RSRC2:TIDIG_COMP_CNT: 0
	.section	.text._ZN9rocsparseL30gtsv_nopivot_pcr_shared_kernelILj128EdEEviiiPKT0_S3_S3_PS1_,"axG",@progbits,_ZN9rocsparseL30gtsv_nopivot_pcr_shared_kernelILj128EdEEviiiPKT0_S3_S3_PS1_,comdat
	.globl	_ZN9rocsparseL30gtsv_nopivot_pcr_shared_kernelILj128EdEEviiiPKT0_S3_S3_PS1_ ; -- Begin function _ZN9rocsparseL30gtsv_nopivot_pcr_shared_kernelILj128EdEEviiiPKT0_S3_S3_PS1_
	.p2align	8
	.type	_ZN9rocsparseL30gtsv_nopivot_pcr_shared_kernelILj128EdEEviiiPKT0_S3_S3_PS1_,@function
_ZN9rocsparseL30gtsv_nopivot_pcr_shared_kernelILj128EdEEviiiPKT0_S3_S3_PS1_: ; @_ZN9rocsparseL30gtsv_nopivot_pcr_shared_kernelILj128EdEEviiiPKT0_S3_S3_PS1_
; %bb.0:
	s_load_dword s7, s[4:5], 0x0
	v_mov_b32_e32 v1, 0
	v_mov_b32_e32 v3, 0
	;; [unrolled: 1-line block ×4, first 2 shown]
	s_waitcnt lgkmcnt(0)
	v_cmp_gt_i32_e64 s[0:1], s7, v0
	v_lshlrev_b32_e32 v7, 3, v0
	s_and_saveexec_b64 s[2:3], s[0:1]
	s_cbranch_execz .LBB39_2
; %bb.1:
	s_load_dwordx2 s[8:9], s[4:5], 0x10
	s_waitcnt lgkmcnt(0)
	global_load_dwordx2 v[3:4], v7, s[8:9]
.LBB39_2:
	s_or_b64 exec, exec, s[2:3]
	s_waitcnt vmcnt(0)
	ds_write_b64 v7, v[3:4]
	s_and_saveexec_b64 s[2:3], s[0:1]
	s_cbranch_execz .LBB39_4
; %bb.3:
	s_load_dwordx2 s[8:9], s[4:5], 0x18
	s_waitcnt lgkmcnt(0)
	global_load_dwordx2 v[1:2], v7, s[8:9]
.LBB39_4:
	s_or_b64 exec, exec, s[2:3]
	s_load_dwordx2 s[8:9], s[4:5], 0x28
	v_mov_b32_e32 v3, 0
	v_mov_b32_e32 v5, 0
	;; [unrolled: 1-line block ×4, first 2 shown]
	s_waitcnt vmcnt(0)
	ds_write_b64 v7, v[1:2] offset:1024
	s_and_saveexec_b64 s[2:3], s[0:1]
	s_cbranch_execz .LBB39_6
; %bb.5:
	s_load_dwordx2 s[10:11], s[4:5], 0x20
	s_waitcnt lgkmcnt(0)
	global_load_dwordx2 v[5:6], v7, s[10:11]
.LBB39_6:
	s_or_b64 exec, exec, s[2:3]
	s_load_dword s2, s[4:5], 0x8
	v_or_b32_e32 v8, 0x400, v7
	v_or_b32_e32 v9, 0x800, v7
	s_waitcnt vmcnt(0)
	ds_write_b64 v7, v[5:6] offset:2048
	s_waitcnt lgkmcnt(0)
	s_mul_i32 s2, s2, s6
	v_add_u32_e32 v1, s2, v0
	s_and_saveexec_b64 s[2:3], s[0:1]
	s_cbranch_execz .LBB39_8
; %bb.7:
	v_mov_b32_e32 v2, 0
	v_lshlrev_b64 v[2:3], 3, v[1:2]
	v_mov_b32_e32 v4, s9
	v_add_co_u32_e32 v2, vcc, s8, v2
	v_addc_co_u32_e32 v3, vcc, v4, v3, vcc
	global_load_dwordx2 v[3:4], v[2:3], off
.LBB39_8:
	s_or_b64 exec, exec, s[2:3]
	v_sub_u32_e64 v2, v0, 1 clamp
	v_lshlrev_b32_e32 v6, 3, v2
	s_waitcnt vmcnt(0)
	ds_write_b64 v7, v[3:4] offset:4096
	s_waitcnt lgkmcnt(0)
	s_barrier
	ds_read_b64 v[14:15], v7
	ds_read_b64 v[18:19], v7 offset:4096
	ds_read2st64_b64 v[2:5], v6 offset1:2
	s_add_i32 s4, s7, -1
	v_add_u32_e32 v10, 1, v0
	v_min_i32_e32 v10, s4, v10
	v_lshlrev_b32_e32 v36, 3, v10
	s_waitcnt lgkmcnt(0)
	v_div_scale_f64 v[16:17], s[2:3], v[4:5], v[4:5], v[14:15]
	ds_read2st64_b64 v[10:13], v36 offset1:2
	ds_read_b64 v[20:21], v9
	ds_read_b64 v[22:23], v8
	s_waitcnt lgkmcnt(1)
	v_div_scale_f64 v[24:25], s[2:3], v[12:13], v[12:13], v[20:21]
	v_rcp_f64_e32 v[26:27], v[16:17]
	v_rcp_f64_e32 v[28:29], v[24:25]
	v_fma_f64 v[30:31], -v[16:17], v[26:27], 1.0
	v_fma_f64 v[32:33], -v[24:25], v[28:29], 1.0
	v_fma_f64 v[26:27], v[26:27], v[30:31], v[26:27]
	v_fma_f64 v[28:29], v[28:29], v[32:33], v[28:29]
	v_div_scale_f64 v[32:33], vcc, v[14:15], v[4:5], v[14:15]
	v_fma_f64 v[30:31], -v[16:17], v[26:27], 1.0
	v_fma_f64 v[34:35], -v[24:25], v[28:29], 1.0
	v_fma_f64 v[26:27], v[26:27], v[30:31], v[26:27]
	v_div_scale_f64 v[30:31], s[2:3], v[20:21], v[12:13], v[20:21]
	v_fma_f64 v[28:29], v[28:29], v[34:35], v[28:29]
	v_mul_f64 v[34:35], v[32:33], v[26:27]
	v_fma_f64 v[16:17], -v[16:17], v[34:35], v[32:33]
	v_mul_f64 v[32:33], v[30:31], v[28:29]
	v_div_fmas_f64 v[16:17], v[16:17], v[26:27], v[34:35]
	v_fma_f64 v[24:25], -v[24:25], v[32:33], v[30:31]
	s_mov_b64 vcc, s[2:3]
	v_div_fmas_f64 v[24:25], v[24:25], v[28:29], v[32:33]
	v_div_fixup_f64 v[4:5], v[16:17], v[4:5], v[14:15]
	ds_read2st64_b64 v[14:17], v6 offset0:4 offset1:8
	v_add_u32_e32 v6, 2, v0
	v_min_i32_e32 v6, s4, v6
	v_lshlrev_b32_e32 v6, 3, v6
	s_waitcnt lgkmcnt(0)
	v_fma_f64 v[22:23], -v[4:5], v[14:15], v[22:23]
	v_div_fixup_f64 v[20:21], v[24:25], v[12:13], v[20:21]
	v_fma_f64 v[16:17], -v[4:5], v[16:17], v[18:19]
	ds_read2st64_b64 v[12:15], v36 offset0:4 offset1:8
	v_mul_f64 v[2:3], v[4:5], -v[2:3]
	v_sub_u32_e64 v18, v0, 2 clamp
	v_lshlrev_b32_e32 v36, 3, v18
	s_waitcnt lgkmcnt(0)
	s_barrier
	v_mul_f64 v[4:5], v[20:21], -v[12:13]
	v_fma_f64 v[10:11], -v[20:21], v[10:11], v[22:23]
	v_fma_f64 v[12:13], -v[20:21], v[14:15], v[16:17]
	ds_write_b64 v7, v[2:3]
	ds_write_b64 v9, v[4:5]
	;; [unrolled: 1-line block ×3, first 2 shown]
	ds_write_b64 v7, v[12:13] offset:4096
	s_waitcnt lgkmcnt(0)
	s_barrier
	ds_read_b64 v[14:15], v7
	ds_read2st64_b64 v[2:5], v36 offset1:2
	ds_read_b64 v[18:19], v7 offset:4096
	ds_read2st64_b64 v[10:13], v6 offset1:2
	ds_read_b64 v[20:21], v9
	ds_read_b64 v[22:23], v8
	s_waitcnt lgkmcnt(4)
	v_div_scale_f64 v[16:17], s[2:3], v[4:5], v[4:5], v[14:15]
	s_waitcnt lgkmcnt(1)
	v_div_scale_f64 v[24:25], s[2:3], v[12:13], v[12:13], v[20:21]
	v_rcp_f64_e32 v[26:27], v[16:17]
	v_rcp_f64_e32 v[28:29], v[24:25]
	v_fma_f64 v[30:31], -v[16:17], v[26:27], 1.0
	v_fma_f64 v[32:33], -v[24:25], v[28:29], 1.0
	v_fma_f64 v[26:27], v[26:27], v[30:31], v[26:27]
	v_fma_f64 v[28:29], v[28:29], v[32:33], v[28:29]
	v_div_scale_f64 v[32:33], vcc, v[14:15], v[4:5], v[14:15]
	v_fma_f64 v[30:31], -v[16:17], v[26:27], 1.0
	v_fma_f64 v[34:35], -v[24:25], v[28:29], 1.0
	v_fma_f64 v[26:27], v[26:27], v[30:31], v[26:27]
	v_div_scale_f64 v[30:31], s[2:3], v[20:21], v[12:13], v[20:21]
	v_fma_f64 v[28:29], v[28:29], v[34:35], v[28:29]
	v_mul_f64 v[34:35], v[32:33], v[26:27]
	v_fma_f64 v[16:17], -v[16:17], v[34:35], v[32:33]
	v_mul_f64 v[32:33], v[30:31], v[28:29]
	v_div_fmas_f64 v[16:17], v[16:17], v[26:27], v[34:35]
	v_fma_f64 v[24:25], -v[24:25], v[32:33], v[30:31]
	s_mov_b64 vcc, s[2:3]
	v_div_fmas_f64 v[24:25], v[24:25], v[28:29], v[32:33]
	v_div_fixup_f64 v[4:5], v[16:17], v[4:5], v[14:15]
	ds_read2st64_b64 v[14:17], v36 offset0:4 offset1:8
	s_waitcnt lgkmcnt(0)
	v_fma_f64 v[22:23], -v[4:5], v[14:15], v[22:23]
	v_div_fixup_f64 v[20:21], v[24:25], v[12:13], v[20:21]
	v_fma_f64 v[16:17], -v[4:5], v[16:17], v[18:19]
	ds_read2st64_b64 v[12:15], v6 offset0:4 offset1:8
	v_mul_f64 v[2:3], v[4:5], -v[2:3]
	v_sub_u32_e64 v18, v0, 4 clamp
	v_lshlrev_b32_e32 v36, 3, v18
	s_waitcnt lgkmcnt(0)
	s_barrier
	v_mul_f64 v[4:5], v[20:21], -v[12:13]
	v_fma_f64 v[10:11], -v[20:21], v[10:11], v[22:23]
	v_fma_f64 v[12:13], -v[20:21], v[14:15], v[16:17]
	ds_write_b64 v7, v[2:3]
	ds_write_b64 v9, v[4:5]
	ds_write_b64 v8, v[10:11]
	ds_write_b64 v7, v[12:13] offset:4096
	s_waitcnt lgkmcnt(0)
	s_barrier
	ds_read_b64 v[14:15], v7
	ds_read2st64_b64 v[2:5], v36 offset1:2
	v_add_u32_e32 v6, 4, v0
	v_min_i32_e32 v6, s4, v6
	v_lshlrev_b32_e32 v6, 3, v6
	ds_read_b64 v[18:19], v7 offset:4096
	s_waitcnt lgkmcnt(1)
	v_div_scale_f64 v[16:17], s[2:3], v[4:5], v[4:5], v[14:15]
	ds_read2st64_b64 v[10:13], v6 offset1:2
	ds_read_b64 v[20:21], v9
	ds_read_b64 v[22:23], v8
	s_waitcnt lgkmcnt(1)
	v_div_scale_f64 v[24:25], s[2:3], v[12:13], v[12:13], v[20:21]
	v_rcp_f64_e32 v[26:27], v[16:17]
	v_rcp_f64_e32 v[28:29], v[24:25]
	v_fma_f64 v[30:31], -v[16:17], v[26:27], 1.0
	v_fma_f64 v[32:33], -v[24:25], v[28:29], 1.0
	v_fma_f64 v[26:27], v[26:27], v[30:31], v[26:27]
	v_fma_f64 v[28:29], v[28:29], v[32:33], v[28:29]
	v_div_scale_f64 v[32:33], vcc, v[14:15], v[4:5], v[14:15]
	v_fma_f64 v[30:31], -v[16:17], v[26:27], 1.0
	v_fma_f64 v[34:35], -v[24:25], v[28:29], 1.0
	v_fma_f64 v[26:27], v[26:27], v[30:31], v[26:27]
	v_div_scale_f64 v[30:31], s[2:3], v[20:21], v[12:13], v[20:21]
	v_fma_f64 v[28:29], v[28:29], v[34:35], v[28:29]
	v_mul_f64 v[34:35], v[32:33], v[26:27]
	v_fma_f64 v[16:17], -v[16:17], v[34:35], v[32:33]
	v_mul_f64 v[32:33], v[30:31], v[28:29]
	v_div_fmas_f64 v[16:17], v[16:17], v[26:27], v[34:35]
	v_fma_f64 v[24:25], -v[24:25], v[32:33], v[30:31]
	s_mov_b64 vcc, s[2:3]
	v_div_fmas_f64 v[24:25], v[24:25], v[28:29], v[32:33]
	v_div_fixup_f64 v[4:5], v[16:17], v[4:5], v[14:15]
	ds_read2st64_b64 v[14:17], v36 offset0:4 offset1:8
	s_waitcnt lgkmcnt(0)
	v_fma_f64 v[22:23], -v[4:5], v[14:15], v[22:23]
	v_div_fixup_f64 v[20:21], v[24:25], v[12:13], v[20:21]
	v_fma_f64 v[16:17], -v[4:5], v[16:17], v[18:19]
	ds_read2st64_b64 v[12:15], v6 offset0:4 offset1:8
	v_mul_f64 v[2:3], v[4:5], -v[2:3]
	v_sub_u32_e64 v18, v0, 8 clamp
	v_lshlrev_b32_e32 v36, 3, v18
	s_waitcnt lgkmcnt(0)
	s_barrier
	v_mul_f64 v[4:5], v[20:21], -v[12:13]
	v_fma_f64 v[10:11], -v[20:21], v[10:11], v[22:23]
	v_fma_f64 v[12:13], -v[20:21], v[14:15], v[16:17]
	ds_write_b64 v7, v[2:3]
	ds_write_b64 v9, v[4:5]
	ds_write_b64 v8, v[10:11]
	ds_write_b64 v7, v[12:13] offset:4096
	s_waitcnt lgkmcnt(0)
	s_barrier
	ds_read_b64 v[14:15], v7
	ds_read2st64_b64 v[2:5], v36 offset1:2
	v_add_u32_e32 v6, 8, v0
	v_min_i32_e32 v6, s4, v6
	v_lshlrev_b32_e32 v6, 3, v6
	ds_read_b64 v[18:19], v7 offset:4096
	s_waitcnt lgkmcnt(1)
	v_div_scale_f64 v[16:17], s[2:3], v[4:5], v[4:5], v[14:15]
	ds_read2st64_b64 v[10:13], v6 offset1:2
	ds_read_b64 v[20:21], v9
	ds_read_b64 v[22:23], v8
	;; [unrolled: 53-line block ×4, first 2 shown]
	s_waitcnt lgkmcnt(1)
	v_div_scale_f64 v[24:25], s[2:3], v[12:13], v[12:13], v[20:21]
	v_rcp_f64_e32 v[26:27], v[16:17]
	v_rcp_f64_e32 v[28:29], v[24:25]
	v_fma_f64 v[30:31], -v[16:17], v[26:27], 1.0
	v_fma_f64 v[32:33], -v[24:25], v[28:29], 1.0
	v_fma_f64 v[26:27], v[26:27], v[30:31], v[26:27]
	v_fma_f64 v[28:29], v[28:29], v[32:33], v[28:29]
	v_div_scale_f64 v[32:33], vcc, v[14:15], v[4:5], v[14:15]
	v_fma_f64 v[30:31], -v[16:17], v[26:27], 1.0
	v_fma_f64 v[34:35], -v[24:25], v[28:29], 1.0
	v_fma_f64 v[26:27], v[26:27], v[30:31], v[26:27]
	v_div_scale_f64 v[30:31], s[2:3], v[20:21], v[12:13], v[20:21]
	v_fma_f64 v[28:29], v[28:29], v[34:35], v[28:29]
	v_mul_f64 v[34:35], v[32:33], v[26:27]
	v_fma_f64 v[16:17], -v[16:17], v[34:35], v[32:33]
	v_mul_f64 v[32:33], v[30:31], v[28:29]
	v_div_fmas_f64 v[16:17], v[16:17], v[26:27], v[34:35]
	v_fma_f64 v[24:25], -v[24:25], v[32:33], v[30:31]
	s_mov_b64 vcc, s[2:3]
	v_div_fmas_f64 v[24:25], v[24:25], v[28:29], v[32:33]
	v_cmp_gt_u32_e32 vcc, 64, v0
	v_div_fixup_f64 v[4:5], v[16:17], v[4:5], v[14:15]
	ds_read2st64_b64 v[14:17], v36 offset0:4 offset1:8
	s_waitcnt lgkmcnt(0)
	v_fma_f64 v[22:23], -v[4:5], v[14:15], v[22:23]
	v_div_fixup_f64 v[20:21], v[24:25], v[12:13], v[20:21]
	v_fma_f64 v[16:17], -v[4:5], v[16:17], v[18:19]
	ds_read2st64_b64 v[12:15], v6 offset0:4 offset1:8
	v_mul_f64 v[2:3], v[4:5], -v[2:3]
	s_waitcnt lgkmcnt(0)
	s_barrier
	v_mul_f64 v[4:5], v[20:21], -v[12:13]
	v_fma_f64 v[10:11], -v[20:21], v[10:11], v[22:23]
	v_fma_f64 v[12:13], -v[20:21], v[14:15], v[16:17]
	ds_write_b64 v7, v[2:3]
	ds_write_b64 v9, v[4:5]
	;; [unrolled: 1-line block ×3, first 2 shown]
	ds_write_b64 v7, v[12:13] offset:4096
	s_waitcnt lgkmcnt(0)
	s_barrier
	s_and_saveexec_b64 s[2:3], vcc
	s_cbranch_execz .LBB39_14
; %bb.9:
	v_or_b32_e32 v4, 64, v0
	v_or_b32_e32 v5, 0x1000, v7
	v_cmp_le_i32_e32 vcc, s7, v4
                                        ; implicit-def: $vgpr2_vgpr3
	s_and_saveexec_b64 s[4:5], vcc
	s_xor_b64 s[4:5], exec, s[4:5]
	s_cbranch_execz .LBB39_11
; %bb.10:
	ds_read_b64 v[2:3], v5
	ds_read_b64 v[4:5], v8
	s_waitcnt lgkmcnt(0)
	v_div_scale_f64 v[8:9], s[6:7], v[4:5], v[4:5], v[2:3]
	v_div_scale_f64 v[14:15], vcc, v[2:3], v[4:5], v[2:3]
	v_rcp_f64_e32 v[10:11], v[8:9]
	v_fma_f64 v[12:13], -v[8:9], v[10:11], 1.0
	v_fma_f64 v[10:11], v[10:11], v[12:13], v[10:11]
	v_fma_f64 v[12:13], -v[8:9], v[10:11], 1.0
	v_fma_f64 v[10:11], v[10:11], v[12:13], v[10:11]
	v_mul_f64 v[12:13], v[14:15], v[10:11]
	v_fma_f64 v[8:9], -v[8:9], v[12:13], v[14:15]
	v_div_fmas_f64 v[8:9], v[8:9], v[10:11], v[12:13]
	v_div_fixup_f64 v[2:3], v[8:9], v[4:5], v[2:3]
                                        ; implicit-def: $vgpr8
                                        ; implicit-def: $vgpr9
                                        ; implicit-def: $vgpr5
                                        ; implicit-def: $vgpr4
.LBB39_11:
	s_andn2_saveexec_b64 s[4:5], s[4:5]
	s_cbranch_execz .LBB39_13
; %bb.12:
	ds_read_b64 v[2:3], v9
	ds_read_b64 v[16:17], v7 offset:512
	ds_read2st64_b64 v[8:11], v8 offset1:1
	v_mov_b32_e32 v0, v4
	s_waitcnt lgkmcnt(1)
	v_mul_f64 v[12:13], v[2:3], v[16:17]
	s_waitcnt lgkmcnt(0)
	v_fma_f64 v[18:19], v[10:11], v[8:9], -v[12:13]
	v_div_scale_f64 v[12:13], s[6:7], v[18:19], v[18:19], 1.0
	v_rcp_f64_e32 v[14:15], v[12:13]
	v_fma_f64 v[20:21], -v[12:13], v[14:15], 1.0
	v_fma_f64 v[14:15], v[14:15], v[20:21], v[14:15]
	v_div_scale_f64 v[20:21], vcc, 1.0, v[18:19], 1.0
	v_fma_f64 v[22:23], -v[12:13], v[14:15], 1.0
	v_fma_f64 v[14:15], v[14:15], v[22:23], v[14:15]
	v_mul_f64 v[22:23], v[20:21], v[14:15]
	v_fma_f64 v[12:13], -v[12:13], v[22:23], v[20:21]
	v_div_fmas_f64 v[20:21], v[12:13], v[14:15], v[22:23]
	ds_read2st64_b64 v[12:15], v5 offset1:1
	s_waitcnt lgkmcnt(0)
	v_mul_f64 v[2:3], v[2:3], v[14:15]
	v_mul_f64 v[5:6], v[16:17], v[12:13]
	v_fma_f64 v[2:3], v[10:11], v[12:13], -v[2:3]
	v_fma_f64 v[5:6], v[8:9], v[14:15], -v[5:6]
	v_div_fixup_f64 v[10:11], v[20:21], v[18:19], 1.0
	v_mul_f64 v[8:9], v[10:11], v[2:3]
	v_mul_f64 v[2:3], v[10:11], v[5:6]
	ds_write_b64 v7, v[8:9] offset:3072
.LBB39_13:
	s_or_b64 exec, exec, s[4:5]
	v_lshlrev_b32_e32 v0, 3, v0
	ds_write_b64 v0, v[2:3] offset:3072
.LBB39_14:
	s_or_b64 exec, exec, s[2:3]
	s_waitcnt lgkmcnt(0)
	s_barrier
	s_and_saveexec_b64 s[2:3], s[0:1]
	s_cbranch_execz .LBB39_16
; %bb.15:
	v_mov_b32_e32 v2, 0
	v_lshlrev_b64 v[0:1], 3, v[1:2]
	ds_read_b64 v[2:3], v7 offset:3072
	v_mov_b32_e32 v4, s9
	v_add_co_u32_e32 v0, vcc, s8, v0
	v_addc_co_u32_e32 v1, vcc, v4, v1, vcc
	s_waitcnt lgkmcnt(0)
	global_store_dwordx2 v[0:1], v[2:3], off
.LBB39_16:
	s_endpgm
	.section	.rodata,"a",@progbits
	.p2align	6, 0x0
	.amdhsa_kernel _ZN9rocsparseL30gtsv_nopivot_pcr_shared_kernelILj128EdEEviiiPKT0_S3_S3_PS1_
		.amdhsa_group_segment_fixed_size 5120
		.amdhsa_private_segment_fixed_size 0
		.amdhsa_kernarg_size 48
		.amdhsa_user_sgpr_count 6
		.amdhsa_user_sgpr_private_segment_buffer 1
		.amdhsa_user_sgpr_dispatch_ptr 0
		.amdhsa_user_sgpr_queue_ptr 0
		.amdhsa_user_sgpr_kernarg_segment_ptr 1
		.amdhsa_user_sgpr_dispatch_id 0
		.amdhsa_user_sgpr_flat_scratch_init 0
		.amdhsa_user_sgpr_private_segment_size 0
		.amdhsa_uses_dynamic_stack 0
		.amdhsa_system_sgpr_private_segment_wavefront_offset 0
		.amdhsa_system_sgpr_workgroup_id_x 1
		.amdhsa_system_sgpr_workgroup_id_y 0
		.amdhsa_system_sgpr_workgroup_id_z 0
		.amdhsa_system_sgpr_workgroup_info 0
		.amdhsa_system_vgpr_workitem_id 0
		.amdhsa_next_free_vgpr 37
		.amdhsa_next_free_sgpr 93
		.amdhsa_reserve_vcc 1
		.amdhsa_reserve_flat_scratch 0
		.amdhsa_float_round_mode_32 0
		.amdhsa_float_round_mode_16_64 0
		.amdhsa_float_denorm_mode_32 3
		.amdhsa_float_denorm_mode_16_64 3
		.amdhsa_dx10_clamp 1
		.amdhsa_ieee_mode 1
		.amdhsa_fp16_overflow 0
		.amdhsa_exception_fp_ieee_invalid_op 0
		.amdhsa_exception_fp_denorm_src 0
		.amdhsa_exception_fp_ieee_div_zero 0
		.amdhsa_exception_fp_ieee_overflow 0
		.amdhsa_exception_fp_ieee_underflow 0
		.amdhsa_exception_fp_ieee_inexact 0
		.amdhsa_exception_int_div_zero 0
	.end_amdhsa_kernel
	.section	.text._ZN9rocsparseL30gtsv_nopivot_pcr_shared_kernelILj128EdEEviiiPKT0_S3_S3_PS1_,"axG",@progbits,_ZN9rocsparseL30gtsv_nopivot_pcr_shared_kernelILj128EdEEviiiPKT0_S3_S3_PS1_,comdat
.Lfunc_end39:
	.size	_ZN9rocsparseL30gtsv_nopivot_pcr_shared_kernelILj128EdEEviiiPKT0_S3_S3_PS1_, .Lfunc_end39-_ZN9rocsparseL30gtsv_nopivot_pcr_shared_kernelILj128EdEEviiiPKT0_S3_S3_PS1_
                                        ; -- End function
	.set _ZN9rocsparseL30gtsv_nopivot_pcr_shared_kernelILj128EdEEviiiPKT0_S3_S3_PS1_.num_vgpr, 37
	.set _ZN9rocsparseL30gtsv_nopivot_pcr_shared_kernelILj128EdEEviiiPKT0_S3_S3_PS1_.num_agpr, 0
	.set _ZN9rocsparseL30gtsv_nopivot_pcr_shared_kernelILj128EdEEviiiPKT0_S3_S3_PS1_.numbered_sgpr, 12
	.set _ZN9rocsparseL30gtsv_nopivot_pcr_shared_kernelILj128EdEEviiiPKT0_S3_S3_PS1_.num_named_barrier, 0
	.set _ZN9rocsparseL30gtsv_nopivot_pcr_shared_kernelILj128EdEEviiiPKT0_S3_S3_PS1_.private_seg_size, 0
	.set _ZN9rocsparseL30gtsv_nopivot_pcr_shared_kernelILj128EdEEviiiPKT0_S3_S3_PS1_.uses_vcc, 1
	.set _ZN9rocsparseL30gtsv_nopivot_pcr_shared_kernelILj128EdEEviiiPKT0_S3_S3_PS1_.uses_flat_scratch, 0
	.set _ZN9rocsparseL30gtsv_nopivot_pcr_shared_kernelILj128EdEEviiiPKT0_S3_S3_PS1_.has_dyn_sized_stack, 0
	.set _ZN9rocsparseL30gtsv_nopivot_pcr_shared_kernelILj128EdEEviiiPKT0_S3_S3_PS1_.has_recursion, 0
	.set _ZN9rocsparseL30gtsv_nopivot_pcr_shared_kernelILj128EdEEviiiPKT0_S3_S3_PS1_.has_indirect_call, 0
	.section	.AMDGPU.csdata,"",@progbits
; Kernel info:
; codeLenInByte = 2948
; TotalNumSgprs: 16
; NumVgprs: 37
; ScratchSize: 0
; MemoryBound: 0
; FloatMode: 240
; IeeeMode: 1
; LDSByteSize: 5120 bytes/workgroup (compile time only)
; SGPRBlocks: 12
; VGPRBlocks: 9
; NumSGPRsForWavesPerEU: 97
; NumVGPRsForWavesPerEU: 37
; Occupancy: 6
; WaveLimiterHint : 0
; COMPUTE_PGM_RSRC2:SCRATCH_EN: 0
; COMPUTE_PGM_RSRC2:USER_SGPR: 6
; COMPUTE_PGM_RSRC2:TRAP_HANDLER: 0
; COMPUTE_PGM_RSRC2:TGID_X_EN: 1
; COMPUTE_PGM_RSRC2:TGID_Y_EN: 0
; COMPUTE_PGM_RSRC2:TGID_Z_EN: 0
; COMPUTE_PGM_RSRC2:TIDIG_COMP_CNT: 0
	.section	.text._ZN9rocsparseL30gtsv_nopivot_pcr_shared_kernelILj256EdEEviiiPKT0_S3_S3_PS1_,"axG",@progbits,_ZN9rocsparseL30gtsv_nopivot_pcr_shared_kernelILj256EdEEviiiPKT0_S3_S3_PS1_,comdat
	.globl	_ZN9rocsparseL30gtsv_nopivot_pcr_shared_kernelILj256EdEEviiiPKT0_S3_S3_PS1_ ; -- Begin function _ZN9rocsparseL30gtsv_nopivot_pcr_shared_kernelILj256EdEEviiiPKT0_S3_S3_PS1_
	.p2align	8
	.type	_ZN9rocsparseL30gtsv_nopivot_pcr_shared_kernelILj256EdEEviiiPKT0_S3_S3_PS1_,@function
_ZN9rocsparseL30gtsv_nopivot_pcr_shared_kernelILj256EdEEviiiPKT0_S3_S3_PS1_: ; @_ZN9rocsparseL30gtsv_nopivot_pcr_shared_kernelILj256EdEEviiiPKT0_S3_S3_PS1_
; %bb.0:
	s_load_dword s7, s[4:5], 0x0
	v_mov_b32_e32 v1, 0
	v_mov_b32_e32 v3, 0
	;; [unrolled: 1-line block ×4, first 2 shown]
	s_waitcnt lgkmcnt(0)
	v_cmp_gt_i32_e64 s[0:1], s7, v0
	v_lshlrev_b32_e32 v7, 3, v0
	s_and_saveexec_b64 s[2:3], s[0:1]
	s_cbranch_execz .LBB40_2
; %bb.1:
	s_load_dwordx2 s[8:9], s[4:5], 0x10
	s_waitcnt lgkmcnt(0)
	global_load_dwordx2 v[3:4], v7, s[8:9]
.LBB40_2:
	s_or_b64 exec, exec, s[2:3]
	s_waitcnt vmcnt(0)
	ds_write_b64 v7, v[3:4]
	s_and_saveexec_b64 s[2:3], s[0:1]
	s_cbranch_execz .LBB40_4
; %bb.3:
	s_load_dwordx2 s[8:9], s[4:5], 0x18
	s_waitcnt lgkmcnt(0)
	global_load_dwordx2 v[1:2], v7, s[8:9]
.LBB40_4:
	s_or_b64 exec, exec, s[2:3]
	s_load_dwordx2 s[8:9], s[4:5], 0x28
	v_mov_b32_e32 v3, 0
	v_mov_b32_e32 v5, 0
	v_mov_b32_e32 v4, 0
	v_mov_b32_e32 v6, 0
	s_waitcnt vmcnt(0)
	ds_write_b64 v7, v[1:2] offset:2048
	s_and_saveexec_b64 s[2:3], s[0:1]
	s_cbranch_execz .LBB40_6
; %bb.5:
	s_load_dwordx2 s[10:11], s[4:5], 0x20
	s_waitcnt lgkmcnt(0)
	global_load_dwordx2 v[5:6], v7, s[10:11]
.LBB40_6:
	s_or_b64 exec, exec, s[2:3]
	s_load_dword s2, s[4:5], 0x8
	v_or_b32_e32 v8, 0x800, v7
	v_or_b32_e32 v9, 0x1000, v7
	s_waitcnt vmcnt(0)
	ds_write_b64 v7, v[5:6] offset:4096
	s_waitcnt lgkmcnt(0)
	s_mul_i32 s2, s2, s6
	v_add_u32_e32 v1, s2, v0
	s_and_saveexec_b64 s[2:3], s[0:1]
	s_cbranch_execz .LBB40_8
; %bb.7:
	v_mov_b32_e32 v2, 0
	v_lshlrev_b64 v[2:3], 3, v[1:2]
	v_mov_b32_e32 v4, s9
	v_add_co_u32_e32 v2, vcc, s8, v2
	v_addc_co_u32_e32 v3, vcc, v4, v3, vcc
	global_load_dwordx2 v[3:4], v[2:3], off
.LBB40_8:
	s_or_b64 exec, exec, s[2:3]
	v_sub_u32_e64 v2, v0, 1 clamp
	v_lshlrev_b32_e32 v6, 3, v2
	s_waitcnt vmcnt(0)
	ds_write_b64 v7, v[3:4] offset:8192
	s_waitcnt lgkmcnt(0)
	s_barrier
	ds_read_b64 v[14:15], v7
	ds_read_b64 v[18:19], v7 offset:8192
	ds_read2st64_b64 v[2:5], v6 offset1:4
	s_add_i32 s4, s7, -1
	v_add_u32_e32 v10, 1, v0
	v_min_i32_e32 v10, s4, v10
	v_lshlrev_b32_e32 v36, 3, v10
	s_waitcnt lgkmcnt(0)
	v_div_scale_f64 v[16:17], s[2:3], v[4:5], v[4:5], v[14:15]
	ds_read2st64_b64 v[10:13], v36 offset1:4
	ds_read_b64 v[20:21], v9
	ds_read_b64 v[22:23], v8
	s_waitcnt lgkmcnt(1)
	v_div_scale_f64 v[24:25], s[2:3], v[12:13], v[12:13], v[20:21]
	v_rcp_f64_e32 v[26:27], v[16:17]
	v_rcp_f64_e32 v[28:29], v[24:25]
	v_fma_f64 v[30:31], -v[16:17], v[26:27], 1.0
	v_fma_f64 v[32:33], -v[24:25], v[28:29], 1.0
	v_fma_f64 v[26:27], v[26:27], v[30:31], v[26:27]
	v_fma_f64 v[28:29], v[28:29], v[32:33], v[28:29]
	v_div_scale_f64 v[32:33], vcc, v[14:15], v[4:5], v[14:15]
	v_fma_f64 v[30:31], -v[16:17], v[26:27], 1.0
	v_fma_f64 v[34:35], -v[24:25], v[28:29], 1.0
	v_fma_f64 v[26:27], v[26:27], v[30:31], v[26:27]
	v_div_scale_f64 v[30:31], s[2:3], v[20:21], v[12:13], v[20:21]
	v_fma_f64 v[28:29], v[28:29], v[34:35], v[28:29]
	v_mul_f64 v[34:35], v[32:33], v[26:27]
	v_fma_f64 v[16:17], -v[16:17], v[34:35], v[32:33]
	v_mul_f64 v[32:33], v[30:31], v[28:29]
	v_div_fmas_f64 v[16:17], v[16:17], v[26:27], v[34:35]
	v_fma_f64 v[24:25], -v[24:25], v[32:33], v[30:31]
	s_mov_b64 vcc, s[2:3]
	v_div_fmas_f64 v[24:25], v[24:25], v[28:29], v[32:33]
	v_div_fixup_f64 v[4:5], v[16:17], v[4:5], v[14:15]
	ds_read2st64_b64 v[14:17], v6 offset0:8 offset1:16
	v_add_u32_e32 v6, 2, v0
	v_min_i32_e32 v6, s4, v6
	v_lshlrev_b32_e32 v6, 3, v6
	s_waitcnt lgkmcnt(0)
	v_fma_f64 v[22:23], -v[4:5], v[14:15], v[22:23]
	v_div_fixup_f64 v[20:21], v[24:25], v[12:13], v[20:21]
	v_fma_f64 v[16:17], -v[4:5], v[16:17], v[18:19]
	ds_read2st64_b64 v[12:15], v36 offset0:8 offset1:16
	v_mul_f64 v[2:3], v[4:5], -v[2:3]
	v_sub_u32_e64 v18, v0, 2 clamp
	v_lshlrev_b32_e32 v36, 3, v18
	s_waitcnt lgkmcnt(0)
	s_barrier
	v_mul_f64 v[4:5], v[20:21], -v[12:13]
	v_fma_f64 v[10:11], -v[20:21], v[10:11], v[22:23]
	v_fma_f64 v[12:13], -v[20:21], v[14:15], v[16:17]
	ds_write_b64 v7, v[2:3]
	ds_write_b64 v9, v[4:5]
	;; [unrolled: 1-line block ×3, first 2 shown]
	ds_write_b64 v7, v[12:13] offset:8192
	s_waitcnt lgkmcnt(0)
	s_barrier
	ds_read_b64 v[14:15], v7
	ds_read2st64_b64 v[2:5], v36 offset1:4
	ds_read_b64 v[18:19], v7 offset:8192
	ds_read2st64_b64 v[10:13], v6 offset1:4
	ds_read_b64 v[20:21], v9
	ds_read_b64 v[22:23], v8
	s_waitcnt lgkmcnt(4)
	v_div_scale_f64 v[16:17], s[2:3], v[4:5], v[4:5], v[14:15]
	s_waitcnt lgkmcnt(1)
	v_div_scale_f64 v[24:25], s[2:3], v[12:13], v[12:13], v[20:21]
	v_rcp_f64_e32 v[26:27], v[16:17]
	v_rcp_f64_e32 v[28:29], v[24:25]
	v_fma_f64 v[30:31], -v[16:17], v[26:27], 1.0
	v_fma_f64 v[32:33], -v[24:25], v[28:29], 1.0
	v_fma_f64 v[26:27], v[26:27], v[30:31], v[26:27]
	v_fma_f64 v[28:29], v[28:29], v[32:33], v[28:29]
	v_div_scale_f64 v[32:33], vcc, v[14:15], v[4:5], v[14:15]
	v_fma_f64 v[30:31], -v[16:17], v[26:27], 1.0
	v_fma_f64 v[34:35], -v[24:25], v[28:29], 1.0
	v_fma_f64 v[26:27], v[26:27], v[30:31], v[26:27]
	v_div_scale_f64 v[30:31], s[2:3], v[20:21], v[12:13], v[20:21]
	v_fma_f64 v[28:29], v[28:29], v[34:35], v[28:29]
	v_mul_f64 v[34:35], v[32:33], v[26:27]
	v_fma_f64 v[16:17], -v[16:17], v[34:35], v[32:33]
	v_mul_f64 v[32:33], v[30:31], v[28:29]
	v_div_fmas_f64 v[16:17], v[16:17], v[26:27], v[34:35]
	v_fma_f64 v[24:25], -v[24:25], v[32:33], v[30:31]
	s_mov_b64 vcc, s[2:3]
	v_div_fmas_f64 v[24:25], v[24:25], v[28:29], v[32:33]
	v_div_fixup_f64 v[4:5], v[16:17], v[4:5], v[14:15]
	ds_read2st64_b64 v[14:17], v36 offset0:8 offset1:16
	s_waitcnt lgkmcnt(0)
	v_fma_f64 v[22:23], -v[4:5], v[14:15], v[22:23]
	v_div_fixup_f64 v[20:21], v[24:25], v[12:13], v[20:21]
	v_fma_f64 v[16:17], -v[4:5], v[16:17], v[18:19]
	ds_read2st64_b64 v[12:15], v6 offset0:8 offset1:16
	v_mul_f64 v[2:3], v[4:5], -v[2:3]
	v_sub_u32_e64 v18, v0, 4 clamp
	v_lshlrev_b32_e32 v36, 3, v18
	s_waitcnt lgkmcnt(0)
	s_barrier
	v_mul_f64 v[4:5], v[20:21], -v[12:13]
	v_fma_f64 v[10:11], -v[20:21], v[10:11], v[22:23]
	v_fma_f64 v[12:13], -v[20:21], v[14:15], v[16:17]
	ds_write_b64 v7, v[2:3]
	ds_write_b64 v9, v[4:5]
	ds_write_b64 v8, v[10:11]
	ds_write_b64 v7, v[12:13] offset:8192
	s_waitcnt lgkmcnt(0)
	s_barrier
	ds_read_b64 v[14:15], v7
	ds_read2st64_b64 v[2:5], v36 offset1:4
	v_add_u32_e32 v6, 4, v0
	v_min_i32_e32 v6, s4, v6
	v_lshlrev_b32_e32 v6, 3, v6
	ds_read_b64 v[18:19], v7 offset:8192
	s_waitcnt lgkmcnt(1)
	v_div_scale_f64 v[16:17], s[2:3], v[4:5], v[4:5], v[14:15]
	ds_read2st64_b64 v[10:13], v6 offset1:4
	ds_read_b64 v[20:21], v9
	ds_read_b64 v[22:23], v8
	s_waitcnt lgkmcnt(1)
	v_div_scale_f64 v[24:25], s[2:3], v[12:13], v[12:13], v[20:21]
	v_rcp_f64_e32 v[26:27], v[16:17]
	v_rcp_f64_e32 v[28:29], v[24:25]
	v_fma_f64 v[30:31], -v[16:17], v[26:27], 1.0
	v_fma_f64 v[32:33], -v[24:25], v[28:29], 1.0
	v_fma_f64 v[26:27], v[26:27], v[30:31], v[26:27]
	v_fma_f64 v[28:29], v[28:29], v[32:33], v[28:29]
	v_div_scale_f64 v[32:33], vcc, v[14:15], v[4:5], v[14:15]
	v_fma_f64 v[30:31], -v[16:17], v[26:27], 1.0
	v_fma_f64 v[34:35], -v[24:25], v[28:29], 1.0
	v_fma_f64 v[26:27], v[26:27], v[30:31], v[26:27]
	v_div_scale_f64 v[30:31], s[2:3], v[20:21], v[12:13], v[20:21]
	v_fma_f64 v[28:29], v[28:29], v[34:35], v[28:29]
	v_mul_f64 v[34:35], v[32:33], v[26:27]
	v_fma_f64 v[16:17], -v[16:17], v[34:35], v[32:33]
	v_mul_f64 v[32:33], v[30:31], v[28:29]
	v_div_fmas_f64 v[16:17], v[16:17], v[26:27], v[34:35]
	v_fma_f64 v[24:25], -v[24:25], v[32:33], v[30:31]
	s_mov_b64 vcc, s[2:3]
	v_div_fmas_f64 v[24:25], v[24:25], v[28:29], v[32:33]
	v_div_fixup_f64 v[4:5], v[16:17], v[4:5], v[14:15]
	ds_read2st64_b64 v[14:17], v36 offset0:8 offset1:16
	s_waitcnt lgkmcnt(0)
	v_fma_f64 v[22:23], -v[4:5], v[14:15], v[22:23]
	v_div_fixup_f64 v[20:21], v[24:25], v[12:13], v[20:21]
	v_fma_f64 v[16:17], -v[4:5], v[16:17], v[18:19]
	ds_read2st64_b64 v[12:15], v6 offset0:8 offset1:16
	v_mul_f64 v[2:3], v[4:5], -v[2:3]
	v_sub_u32_e64 v18, v0, 8 clamp
	v_lshlrev_b32_e32 v36, 3, v18
	s_waitcnt lgkmcnt(0)
	s_barrier
	v_mul_f64 v[4:5], v[20:21], -v[12:13]
	v_fma_f64 v[10:11], -v[20:21], v[10:11], v[22:23]
	v_fma_f64 v[12:13], -v[20:21], v[14:15], v[16:17]
	ds_write_b64 v7, v[2:3]
	ds_write_b64 v9, v[4:5]
	ds_write_b64 v8, v[10:11]
	ds_write_b64 v7, v[12:13] offset:8192
	s_waitcnt lgkmcnt(0)
	s_barrier
	ds_read_b64 v[14:15], v7
	ds_read2st64_b64 v[2:5], v36 offset1:4
	v_add_u32_e32 v6, 8, v0
	v_min_i32_e32 v6, s4, v6
	v_lshlrev_b32_e32 v6, 3, v6
	ds_read_b64 v[18:19], v7 offset:8192
	s_waitcnt lgkmcnt(1)
	v_div_scale_f64 v[16:17], s[2:3], v[4:5], v[4:5], v[14:15]
	ds_read2st64_b64 v[10:13], v6 offset1:4
	ds_read_b64 v[20:21], v9
	ds_read_b64 v[22:23], v8
	;; [unrolled: 53-line block ×5, first 2 shown]
	s_waitcnt lgkmcnt(1)
	v_div_scale_f64 v[24:25], s[2:3], v[12:13], v[12:13], v[20:21]
	v_rcp_f64_e32 v[26:27], v[16:17]
	v_rcp_f64_e32 v[28:29], v[24:25]
	v_fma_f64 v[30:31], -v[16:17], v[26:27], 1.0
	v_fma_f64 v[32:33], -v[24:25], v[28:29], 1.0
	v_fma_f64 v[26:27], v[26:27], v[30:31], v[26:27]
	v_fma_f64 v[28:29], v[28:29], v[32:33], v[28:29]
	v_div_scale_f64 v[32:33], vcc, v[14:15], v[4:5], v[14:15]
	v_fma_f64 v[30:31], -v[16:17], v[26:27], 1.0
	v_fma_f64 v[34:35], -v[24:25], v[28:29], 1.0
	v_fma_f64 v[26:27], v[26:27], v[30:31], v[26:27]
	v_div_scale_f64 v[30:31], s[2:3], v[20:21], v[12:13], v[20:21]
	v_fma_f64 v[28:29], v[28:29], v[34:35], v[28:29]
	v_mul_f64 v[34:35], v[32:33], v[26:27]
	v_fma_f64 v[16:17], -v[16:17], v[34:35], v[32:33]
	v_mul_f64 v[32:33], v[30:31], v[28:29]
	v_div_fmas_f64 v[16:17], v[16:17], v[26:27], v[34:35]
	v_fma_f64 v[24:25], -v[24:25], v[32:33], v[30:31]
	s_mov_b64 vcc, s[2:3]
	s_movk_i32 s2, 0x80
	v_div_fmas_f64 v[24:25], v[24:25], v[28:29], v[32:33]
	v_cmp_gt_u32_e32 vcc, s2, v0
	v_div_fixup_f64 v[4:5], v[16:17], v[4:5], v[14:15]
	ds_read2st64_b64 v[14:17], v36 offset0:8 offset1:16
	s_waitcnt lgkmcnt(0)
	v_fma_f64 v[22:23], -v[4:5], v[14:15], v[22:23]
	v_div_fixup_f64 v[20:21], v[24:25], v[12:13], v[20:21]
	v_fma_f64 v[16:17], -v[4:5], v[16:17], v[18:19]
	ds_read2st64_b64 v[12:15], v6 offset0:8 offset1:16
	v_mul_f64 v[2:3], v[4:5], -v[2:3]
	s_waitcnt lgkmcnt(0)
	s_barrier
	v_mul_f64 v[4:5], v[20:21], -v[12:13]
	v_fma_f64 v[10:11], -v[20:21], v[10:11], v[22:23]
	v_fma_f64 v[12:13], -v[20:21], v[14:15], v[16:17]
	ds_write_b64 v7, v[2:3]
	ds_write_b64 v9, v[4:5]
	;; [unrolled: 1-line block ×3, first 2 shown]
	ds_write_b64 v7, v[12:13] offset:8192
	s_waitcnt lgkmcnt(0)
	s_barrier
	s_and_saveexec_b64 s[2:3], vcc
	s_cbranch_execz .LBB40_14
; %bb.9:
	v_or_b32_e32 v4, 0x80, v0
	v_or_b32_e32 v5, 0x2000, v7
	v_cmp_le_i32_e32 vcc, s7, v4
                                        ; implicit-def: $vgpr2_vgpr3
	s_and_saveexec_b64 s[4:5], vcc
	s_xor_b64 s[4:5], exec, s[4:5]
	s_cbranch_execz .LBB40_11
; %bb.10:
	ds_read_b64 v[2:3], v5
	ds_read_b64 v[4:5], v8
	s_waitcnt lgkmcnt(0)
	v_div_scale_f64 v[8:9], s[6:7], v[4:5], v[4:5], v[2:3]
	v_div_scale_f64 v[14:15], vcc, v[2:3], v[4:5], v[2:3]
	v_rcp_f64_e32 v[10:11], v[8:9]
	v_fma_f64 v[12:13], -v[8:9], v[10:11], 1.0
	v_fma_f64 v[10:11], v[10:11], v[12:13], v[10:11]
	v_fma_f64 v[12:13], -v[8:9], v[10:11], 1.0
	v_fma_f64 v[10:11], v[10:11], v[12:13], v[10:11]
	v_mul_f64 v[12:13], v[14:15], v[10:11]
	v_fma_f64 v[8:9], -v[8:9], v[12:13], v[14:15]
	v_div_fmas_f64 v[8:9], v[8:9], v[10:11], v[12:13]
	v_div_fixup_f64 v[2:3], v[8:9], v[4:5], v[2:3]
                                        ; implicit-def: $vgpr8
                                        ; implicit-def: $vgpr9
                                        ; implicit-def: $vgpr5
                                        ; implicit-def: $vgpr4
.LBB40_11:
	s_andn2_saveexec_b64 s[4:5], s[4:5]
	s_cbranch_execz .LBB40_13
; %bb.12:
	ds_read_b64 v[2:3], v9
	ds_read_b64 v[16:17], v7 offset:1024
	ds_read2st64_b64 v[8:11], v8 offset1:2
	v_mov_b32_e32 v0, v4
	s_waitcnt lgkmcnt(1)
	v_mul_f64 v[12:13], v[2:3], v[16:17]
	s_waitcnt lgkmcnt(0)
	v_fma_f64 v[18:19], v[10:11], v[8:9], -v[12:13]
	v_div_scale_f64 v[12:13], s[6:7], v[18:19], v[18:19], 1.0
	v_rcp_f64_e32 v[14:15], v[12:13]
	v_fma_f64 v[20:21], -v[12:13], v[14:15], 1.0
	v_fma_f64 v[14:15], v[14:15], v[20:21], v[14:15]
	v_div_scale_f64 v[20:21], vcc, 1.0, v[18:19], 1.0
	v_fma_f64 v[22:23], -v[12:13], v[14:15], 1.0
	v_fma_f64 v[14:15], v[14:15], v[22:23], v[14:15]
	v_mul_f64 v[22:23], v[20:21], v[14:15]
	v_fma_f64 v[12:13], -v[12:13], v[22:23], v[20:21]
	v_div_fmas_f64 v[20:21], v[12:13], v[14:15], v[22:23]
	ds_read2st64_b64 v[12:15], v5 offset1:2
	s_waitcnt lgkmcnt(0)
	v_mul_f64 v[2:3], v[2:3], v[14:15]
	v_mul_f64 v[5:6], v[16:17], v[12:13]
	v_fma_f64 v[2:3], v[10:11], v[12:13], -v[2:3]
	v_fma_f64 v[5:6], v[8:9], v[14:15], -v[5:6]
	v_div_fixup_f64 v[10:11], v[20:21], v[18:19], 1.0
	v_mul_f64 v[8:9], v[10:11], v[2:3]
	v_mul_f64 v[2:3], v[10:11], v[5:6]
	ds_write_b64 v7, v[8:9] offset:6144
.LBB40_13:
	s_or_b64 exec, exec, s[4:5]
	v_lshlrev_b32_e32 v0, 3, v0
	ds_write_b64 v0, v[2:3] offset:6144
.LBB40_14:
	s_or_b64 exec, exec, s[2:3]
	s_waitcnt lgkmcnt(0)
	s_barrier
	s_and_saveexec_b64 s[2:3], s[0:1]
	s_cbranch_execz .LBB40_16
; %bb.15:
	v_mov_b32_e32 v2, 0
	v_lshlrev_b64 v[0:1], 3, v[1:2]
	ds_read_b64 v[2:3], v7 offset:6144
	v_mov_b32_e32 v4, s9
	v_add_co_u32_e32 v0, vcc, s8, v0
	v_addc_co_u32_e32 v1, vcc, v4, v1, vcc
	s_waitcnt lgkmcnt(0)
	global_store_dwordx2 v[0:1], v[2:3], off
.LBB40_16:
	s_endpgm
	.section	.rodata,"a",@progbits
	.p2align	6, 0x0
	.amdhsa_kernel _ZN9rocsparseL30gtsv_nopivot_pcr_shared_kernelILj256EdEEviiiPKT0_S3_S3_PS1_
		.amdhsa_group_segment_fixed_size 10240
		.amdhsa_private_segment_fixed_size 0
		.amdhsa_kernarg_size 48
		.amdhsa_user_sgpr_count 6
		.amdhsa_user_sgpr_private_segment_buffer 1
		.amdhsa_user_sgpr_dispatch_ptr 0
		.amdhsa_user_sgpr_queue_ptr 0
		.amdhsa_user_sgpr_kernarg_segment_ptr 1
		.amdhsa_user_sgpr_dispatch_id 0
		.amdhsa_user_sgpr_flat_scratch_init 0
		.amdhsa_user_sgpr_private_segment_size 0
		.amdhsa_uses_dynamic_stack 0
		.amdhsa_system_sgpr_private_segment_wavefront_offset 0
		.amdhsa_system_sgpr_workgroup_id_x 1
		.amdhsa_system_sgpr_workgroup_id_y 0
		.amdhsa_system_sgpr_workgroup_id_z 0
		.amdhsa_system_sgpr_workgroup_info 0
		.amdhsa_system_vgpr_workitem_id 0
		.amdhsa_next_free_vgpr 37
		.amdhsa_next_free_sgpr 93
		.amdhsa_reserve_vcc 1
		.amdhsa_reserve_flat_scratch 0
		.amdhsa_float_round_mode_32 0
		.amdhsa_float_round_mode_16_64 0
		.amdhsa_float_denorm_mode_32 3
		.amdhsa_float_denorm_mode_16_64 3
		.amdhsa_dx10_clamp 1
		.amdhsa_ieee_mode 1
		.amdhsa_fp16_overflow 0
		.amdhsa_exception_fp_ieee_invalid_op 0
		.amdhsa_exception_fp_denorm_src 0
		.amdhsa_exception_fp_ieee_div_zero 0
		.amdhsa_exception_fp_ieee_overflow 0
		.amdhsa_exception_fp_ieee_underflow 0
		.amdhsa_exception_fp_ieee_inexact 0
		.amdhsa_exception_int_div_zero 0
	.end_amdhsa_kernel
	.section	.text._ZN9rocsparseL30gtsv_nopivot_pcr_shared_kernelILj256EdEEviiiPKT0_S3_S3_PS1_,"axG",@progbits,_ZN9rocsparseL30gtsv_nopivot_pcr_shared_kernelILj256EdEEviiiPKT0_S3_S3_PS1_,comdat
.Lfunc_end40:
	.size	_ZN9rocsparseL30gtsv_nopivot_pcr_shared_kernelILj256EdEEviiiPKT0_S3_S3_PS1_, .Lfunc_end40-_ZN9rocsparseL30gtsv_nopivot_pcr_shared_kernelILj256EdEEviiiPKT0_S3_S3_PS1_
                                        ; -- End function
	.set _ZN9rocsparseL30gtsv_nopivot_pcr_shared_kernelILj256EdEEviiiPKT0_S3_S3_PS1_.num_vgpr, 37
	.set _ZN9rocsparseL30gtsv_nopivot_pcr_shared_kernelILj256EdEEviiiPKT0_S3_S3_PS1_.num_agpr, 0
	.set _ZN9rocsparseL30gtsv_nopivot_pcr_shared_kernelILj256EdEEviiiPKT0_S3_S3_PS1_.numbered_sgpr, 12
	.set _ZN9rocsparseL30gtsv_nopivot_pcr_shared_kernelILj256EdEEviiiPKT0_S3_S3_PS1_.num_named_barrier, 0
	.set _ZN9rocsparseL30gtsv_nopivot_pcr_shared_kernelILj256EdEEviiiPKT0_S3_S3_PS1_.private_seg_size, 0
	.set _ZN9rocsparseL30gtsv_nopivot_pcr_shared_kernelILj256EdEEviiiPKT0_S3_S3_PS1_.uses_vcc, 1
	.set _ZN9rocsparseL30gtsv_nopivot_pcr_shared_kernelILj256EdEEviiiPKT0_S3_S3_PS1_.uses_flat_scratch, 0
	.set _ZN9rocsparseL30gtsv_nopivot_pcr_shared_kernelILj256EdEEviiiPKT0_S3_S3_PS1_.has_dyn_sized_stack, 0
	.set _ZN9rocsparseL30gtsv_nopivot_pcr_shared_kernelILj256EdEEviiiPKT0_S3_S3_PS1_.has_recursion, 0
	.set _ZN9rocsparseL30gtsv_nopivot_pcr_shared_kernelILj256EdEEviiiPKT0_S3_S3_PS1_.has_indirect_call, 0
	.section	.AMDGPU.csdata,"",@progbits
; Kernel info:
; codeLenInByte = 3324
; TotalNumSgprs: 16
; NumVgprs: 37
; ScratchSize: 0
; MemoryBound: 1
; FloatMode: 240
; IeeeMode: 1
; LDSByteSize: 10240 bytes/workgroup (compile time only)
; SGPRBlocks: 12
; VGPRBlocks: 9
; NumSGPRsForWavesPerEU: 97
; NumVGPRsForWavesPerEU: 37
; Occupancy: 6
; WaveLimiterHint : 1
; COMPUTE_PGM_RSRC2:SCRATCH_EN: 0
; COMPUTE_PGM_RSRC2:USER_SGPR: 6
; COMPUTE_PGM_RSRC2:TRAP_HANDLER: 0
; COMPUTE_PGM_RSRC2:TGID_X_EN: 1
; COMPUTE_PGM_RSRC2:TGID_Y_EN: 0
; COMPUTE_PGM_RSRC2:TGID_Z_EN: 0
; COMPUTE_PGM_RSRC2:TIDIG_COMP_CNT: 0
	.section	.text._ZN9rocsparseL30gtsv_nopivot_pcr_shared_kernelILj512EdEEviiiPKT0_S3_S3_PS1_,"axG",@progbits,_ZN9rocsparseL30gtsv_nopivot_pcr_shared_kernelILj512EdEEviiiPKT0_S3_S3_PS1_,comdat
	.globl	_ZN9rocsparseL30gtsv_nopivot_pcr_shared_kernelILj512EdEEviiiPKT0_S3_S3_PS1_ ; -- Begin function _ZN9rocsparseL30gtsv_nopivot_pcr_shared_kernelILj512EdEEviiiPKT0_S3_S3_PS1_
	.p2align	8
	.type	_ZN9rocsparseL30gtsv_nopivot_pcr_shared_kernelILj512EdEEviiiPKT0_S3_S3_PS1_,@function
_ZN9rocsparseL30gtsv_nopivot_pcr_shared_kernelILj512EdEEviiiPKT0_S3_S3_PS1_: ; @_ZN9rocsparseL30gtsv_nopivot_pcr_shared_kernelILj512EdEEviiiPKT0_S3_S3_PS1_
; %bb.0:
	s_load_dword s7, s[4:5], 0x0
	v_mov_b32_e32 v1, 0
	v_mov_b32_e32 v3, 0
	v_mov_b32_e32 v2, 0
	v_mov_b32_e32 v4, 0
	s_waitcnt lgkmcnt(0)
	v_cmp_gt_i32_e64 s[0:1], s7, v0
	v_lshlrev_b32_e32 v7, 3, v0
	s_and_saveexec_b64 s[2:3], s[0:1]
	s_cbranch_execz .LBB41_2
; %bb.1:
	s_load_dwordx2 s[8:9], s[4:5], 0x10
	s_waitcnt lgkmcnt(0)
	global_load_dwordx2 v[3:4], v7, s[8:9]
.LBB41_2:
	s_or_b64 exec, exec, s[2:3]
	s_waitcnt vmcnt(0)
	ds_write_b64 v7, v[3:4]
	s_and_saveexec_b64 s[2:3], s[0:1]
	s_cbranch_execz .LBB41_4
; %bb.3:
	s_load_dwordx2 s[8:9], s[4:5], 0x18
	s_waitcnt lgkmcnt(0)
	global_load_dwordx2 v[1:2], v7, s[8:9]
.LBB41_4:
	s_or_b64 exec, exec, s[2:3]
	s_load_dwordx2 s[8:9], s[4:5], 0x28
	v_mov_b32_e32 v3, 0
	v_mov_b32_e32 v5, 0
	;; [unrolled: 1-line block ×4, first 2 shown]
	s_waitcnt vmcnt(0)
	ds_write_b64 v7, v[1:2] offset:4096
	s_and_saveexec_b64 s[2:3], s[0:1]
	s_cbranch_execz .LBB41_6
; %bb.5:
	s_load_dwordx2 s[10:11], s[4:5], 0x20
	s_waitcnt lgkmcnt(0)
	global_load_dwordx2 v[5:6], v7, s[10:11]
.LBB41_6:
	s_or_b64 exec, exec, s[2:3]
	s_load_dword s2, s[4:5], 0x8
	v_or_b32_e32 v8, 0x1000, v7
	v_or_b32_e32 v9, 0x2000, v7
	s_waitcnt vmcnt(0)
	ds_write_b64 v7, v[5:6] offset:8192
	s_waitcnt lgkmcnt(0)
	s_mul_i32 s2, s2, s6
	v_add_u32_e32 v1, s2, v0
	s_and_saveexec_b64 s[2:3], s[0:1]
	s_cbranch_execz .LBB41_8
; %bb.7:
	v_mov_b32_e32 v2, 0
	v_lshlrev_b64 v[2:3], 3, v[1:2]
	v_mov_b32_e32 v4, s9
	v_add_co_u32_e32 v2, vcc, s8, v2
	v_addc_co_u32_e32 v3, vcc, v4, v3, vcc
	global_load_dwordx2 v[3:4], v[2:3], off
.LBB41_8:
	s_or_b64 exec, exec, s[2:3]
	v_sub_u32_e64 v2, v0, 1 clamp
	v_lshlrev_b32_e32 v6, 3, v2
	s_waitcnt vmcnt(0)
	ds_write_b64 v7, v[3:4] offset:16384
	s_waitcnt lgkmcnt(0)
	s_barrier
	ds_read_b64 v[14:15], v7
	ds_read_b64 v[18:19], v7 offset:16384
	ds_read2st64_b64 v[2:5], v6 offset1:8
	s_add_i32 s4, s7, -1
	v_add_u32_e32 v10, 1, v0
	v_min_i32_e32 v10, s4, v10
	v_lshlrev_b32_e32 v36, 3, v10
	s_waitcnt lgkmcnt(0)
	v_div_scale_f64 v[16:17], s[2:3], v[4:5], v[4:5], v[14:15]
	ds_read2st64_b64 v[10:13], v36 offset1:8
	ds_read_b64 v[20:21], v9
	ds_read_b64 v[22:23], v8
	s_waitcnt lgkmcnt(1)
	v_div_scale_f64 v[24:25], s[2:3], v[12:13], v[12:13], v[20:21]
	v_rcp_f64_e32 v[26:27], v[16:17]
	v_rcp_f64_e32 v[28:29], v[24:25]
	v_fma_f64 v[30:31], -v[16:17], v[26:27], 1.0
	v_fma_f64 v[32:33], -v[24:25], v[28:29], 1.0
	v_fma_f64 v[26:27], v[26:27], v[30:31], v[26:27]
	v_fma_f64 v[28:29], v[28:29], v[32:33], v[28:29]
	v_div_scale_f64 v[32:33], vcc, v[14:15], v[4:5], v[14:15]
	v_fma_f64 v[30:31], -v[16:17], v[26:27], 1.0
	v_fma_f64 v[34:35], -v[24:25], v[28:29], 1.0
	v_fma_f64 v[26:27], v[26:27], v[30:31], v[26:27]
	v_div_scale_f64 v[30:31], s[2:3], v[20:21], v[12:13], v[20:21]
	v_fma_f64 v[28:29], v[28:29], v[34:35], v[28:29]
	v_mul_f64 v[34:35], v[32:33], v[26:27]
	v_fma_f64 v[16:17], -v[16:17], v[34:35], v[32:33]
	v_mul_f64 v[32:33], v[30:31], v[28:29]
	v_div_fmas_f64 v[16:17], v[16:17], v[26:27], v[34:35]
	v_fma_f64 v[24:25], -v[24:25], v[32:33], v[30:31]
	s_mov_b64 vcc, s[2:3]
	v_div_fmas_f64 v[24:25], v[24:25], v[28:29], v[32:33]
	v_div_fixup_f64 v[4:5], v[16:17], v[4:5], v[14:15]
	ds_read2st64_b64 v[14:17], v6 offset0:16 offset1:32
	v_add_u32_e32 v6, 2, v0
	v_min_i32_e32 v6, s4, v6
	v_lshlrev_b32_e32 v6, 3, v6
	s_waitcnt lgkmcnt(0)
	v_fma_f64 v[22:23], -v[4:5], v[14:15], v[22:23]
	v_div_fixup_f64 v[20:21], v[24:25], v[12:13], v[20:21]
	v_fma_f64 v[16:17], -v[4:5], v[16:17], v[18:19]
	ds_read2st64_b64 v[12:15], v36 offset0:16 offset1:32
	v_mul_f64 v[2:3], v[4:5], -v[2:3]
	v_sub_u32_e64 v18, v0, 2 clamp
	v_lshlrev_b32_e32 v36, 3, v18
	s_waitcnt lgkmcnt(0)
	s_barrier
	v_mul_f64 v[4:5], v[20:21], -v[12:13]
	v_fma_f64 v[10:11], -v[20:21], v[10:11], v[22:23]
	v_fma_f64 v[12:13], -v[20:21], v[14:15], v[16:17]
	ds_write_b64 v7, v[2:3]
	ds_write_b64 v9, v[4:5]
	;; [unrolled: 1-line block ×3, first 2 shown]
	ds_write_b64 v7, v[12:13] offset:16384
	s_waitcnt lgkmcnt(0)
	s_barrier
	ds_read_b64 v[14:15], v7
	ds_read2st64_b64 v[2:5], v36 offset1:8
	ds_read_b64 v[18:19], v7 offset:16384
	ds_read2st64_b64 v[10:13], v6 offset1:8
	ds_read_b64 v[20:21], v9
	ds_read_b64 v[22:23], v8
	s_waitcnt lgkmcnt(4)
	v_div_scale_f64 v[16:17], s[2:3], v[4:5], v[4:5], v[14:15]
	s_waitcnt lgkmcnt(1)
	v_div_scale_f64 v[24:25], s[2:3], v[12:13], v[12:13], v[20:21]
	v_rcp_f64_e32 v[26:27], v[16:17]
	v_rcp_f64_e32 v[28:29], v[24:25]
	v_fma_f64 v[30:31], -v[16:17], v[26:27], 1.0
	v_fma_f64 v[32:33], -v[24:25], v[28:29], 1.0
	v_fma_f64 v[26:27], v[26:27], v[30:31], v[26:27]
	v_fma_f64 v[28:29], v[28:29], v[32:33], v[28:29]
	v_div_scale_f64 v[32:33], vcc, v[14:15], v[4:5], v[14:15]
	v_fma_f64 v[30:31], -v[16:17], v[26:27], 1.0
	v_fma_f64 v[34:35], -v[24:25], v[28:29], 1.0
	v_fma_f64 v[26:27], v[26:27], v[30:31], v[26:27]
	v_div_scale_f64 v[30:31], s[2:3], v[20:21], v[12:13], v[20:21]
	v_fma_f64 v[28:29], v[28:29], v[34:35], v[28:29]
	v_mul_f64 v[34:35], v[32:33], v[26:27]
	v_fma_f64 v[16:17], -v[16:17], v[34:35], v[32:33]
	v_mul_f64 v[32:33], v[30:31], v[28:29]
	v_div_fmas_f64 v[16:17], v[16:17], v[26:27], v[34:35]
	v_fma_f64 v[24:25], -v[24:25], v[32:33], v[30:31]
	s_mov_b64 vcc, s[2:3]
	v_div_fmas_f64 v[24:25], v[24:25], v[28:29], v[32:33]
	v_div_fixup_f64 v[4:5], v[16:17], v[4:5], v[14:15]
	ds_read2st64_b64 v[14:17], v36 offset0:16 offset1:32
	s_waitcnt lgkmcnt(0)
	v_fma_f64 v[22:23], -v[4:5], v[14:15], v[22:23]
	v_div_fixup_f64 v[20:21], v[24:25], v[12:13], v[20:21]
	v_fma_f64 v[16:17], -v[4:5], v[16:17], v[18:19]
	ds_read2st64_b64 v[12:15], v6 offset0:16 offset1:32
	v_mul_f64 v[2:3], v[4:5], -v[2:3]
	v_sub_u32_e64 v18, v0, 4 clamp
	v_lshlrev_b32_e32 v36, 3, v18
	s_waitcnt lgkmcnt(0)
	s_barrier
	v_mul_f64 v[4:5], v[20:21], -v[12:13]
	v_fma_f64 v[10:11], -v[20:21], v[10:11], v[22:23]
	v_fma_f64 v[12:13], -v[20:21], v[14:15], v[16:17]
	ds_write_b64 v7, v[2:3]
	ds_write_b64 v9, v[4:5]
	ds_write_b64 v8, v[10:11]
	ds_write_b64 v7, v[12:13] offset:16384
	s_waitcnt lgkmcnt(0)
	s_barrier
	ds_read_b64 v[14:15], v7
	ds_read2st64_b64 v[2:5], v36 offset1:8
	v_add_u32_e32 v6, 4, v0
	v_min_i32_e32 v6, s4, v6
	v_lshlrev_b32_e32 v6, 3, v6
	ds_read_b64 v[18:19], v7 offset:16384
	s_waitcnt lgkmcnt(1)
	v_div_scale_f64 v[16:17], s[2:3], v[4:5], v[4:5], v[14:15]
	ds_read2st64_b64 v[10:13], v6 offset1:8
	ds_read_b64 v[20:21], v9
	ds_read_b64 v[22:23], v8
	s_waitcnt lgkmcnt(1)
	v_div_scale_f64 v[24:25], s[2:3], v[12:13], v[12:13], v[20:21]
	v_rcp_f64_e32 v[26:27], v[16:17]
	v_rcp_f64_e32 v[28:29], v[24:25]
	v_fma_f64 v[30:31], -v[16:17], v[26:27], 1.0
	v_fma_f64 v[32:33], -v[24:25], v[28:29], 1.0
	v_fma_f64 v[26:27], v[26:27], v[30:31], v[26:27]
	v_fma_f64 v[28:29], v[28:29], v[32:33], v[28:29]
	v_div_scale_f64 v[32:33], vcc, v[14:15], v[4:5], v[14:15]
	v_fma_f64 v[30:31], -v[16:17], v[26:27], 1.0
	v_fma_f64 v[34:35], -v[24:25], v[28:29], 1.0
	v_fma_f64 v[26:27], v[26:27], v[30:31], v[26:27]
	v_div_scale_f64 v[30:31], s[2:3], v[20:21], v[12:13], v[20:21]
	v_fma_f64 v[28:29], v[28:29], v[34:35], v[28:29]
	v_mul_f64 v[34:35], v[32:33], v[26:27]
	v_fma_f64 v[16:17], -v[16:17], v[34:35], v[32:33]
	v_mul_f64 v[32:33], v[30:31], v[28:29]
	v_div_fmas_f64 v[16:17], v[16:17], v[26:27], v[34:35]
	v_fma_f64 v[24:25], -v[24:25], v[32:33], v[30:31]
	s_mov_b64 vcc, s[2:3]
	v_div_fmas_f64 v[24:25], v[24:25], v[28:29], v[32:33]
	v_div_fixup_f64 v[4:5], v[16:17], v[4:5], v[14:15]
	ds_read2st64_b64 v[14:17], v36 offset0:16 offset1:32
	s_waitcnt lgkmcnt(0)
	v_fma_f64 v[22:23], -v[4:5], v[14:15], v[22:23]
	v_div_fixup_f64 v[20:21], v[24:25], v[12:13], v[20:21]
	v_fma_f64 v[16:17], -v[4:5], v[16:17], v[18:19]
	ds_read2st64_b64 v[12:15], v6 offset0:16 offset1:32
	v_mul_f64 v[2:3], v[4:5], -v[2:3]
	v_sub_u32_e64 v18, v0, 8 clamp
	v_lshlrev_b32_e32 v36, 3, v18
	s_waitcnt lgkmcnt(0)
	s_barrier
	v_mul_f64 v[4:5], v[20:21], -v[12:13]
	v_fma_f64 v[10:11], -v[20:21], v[10:11], v[22:23]
	v_fma_f64 v[12:13], -v[20:21], v[14:15], v[16:17]
	ds_write_b64 v7, v[2:3]
	ds_write_b64 v9, v[4:5]
	ds_write_b64 v8, v[10:11]
	ds_write_b64 v7, v[12:13] offset:16384
	s_waitcnt lgkmcnt(0)
	s_barrier
	ds_read_b64 v[14:15], v7
	ds_read2st64_b64 v[2:5], v36 offset1:8
	v_add_u32_e32 v6, 8, v0
	v_min_i32_e32 v6, s4, v6
	v_lshlrev_b32_e32 v6, 3, v6
	ds_read_b64 v[18:19], v7 offset:16384
	s_waitcnt lgkmcnt(1)
	v_div_scale_f64 v[16:17], s[2:3], v[4:5], v[4:5], v[14:15]
	ds_read2st64_b64 v[10:13], v6 offset1:8
	ds_read_b64 v[20:21], v9
	ds_read_b64 v[22:23], v8
	;; [unrolled: 53-line block ×5, first 2 shown]
	s_waitcnt lgkmcnt(1)
	v_div_scale_f64 v[24:25], s[2:3], v[12:13], v[12:13], v[20:21]
	v_rcp_f64_e32 v[26:27], v[16:17]
	v_rcp_f64_e32 v[28:29], v[24:25]
	v_fma_f64 v[30:31], -v[16:17], v[26:27], 1.0
	v_fma_f64 v[32:33], -v[24:25], v[28:29], 1.0
	v_fma_f64 v[26:27], v[26:27], v[30:31], v[26:27]
	v_fma_f64 v[28:29], v[28:29], v[32:33], v[28:29]
	v_div_scale_f64 v[32:33], vcc, v[14:15], v[4:5], v[14:15]
	v_fma_f64 v[30:31], -v[16:17], v[26:27], 1.0
	v_fma_f64 v[34:35], -v[24:25], v[28:29], 1.0
	v_fma_f64 v[26:27], v[26:27], v[30:31], v[26:27]
	v_div_scale_f64 v[30:31], s[2:3], v[20:21], v[12:13], v[20:21]
	v_fma_f64 v[28:29], v[28:29], v[34:35], v[28:29]
	v_mul_f64 v[34:35], v[32:33], v[26:27]
	v_fma_f64 v[16:17], -v[16:17], v[34:35], v[32:33]
	v_mul_f64 v[32:33], v[30:31], v[28:29]
	v_div_fmas_f64 v[16:17], v[16:17], v[26:27], v[34:35]
	v_fma_f64 v[24:25], -v[24:25], v[32:33], v[30:31]
	s_mov_b64 vcc, s[2:3]
	s_movk_i32 s2, 0x80
	v_div_fmas_f64 v[24:25], v[24:25], v[28:29], v[32:33]
	v_div_fixup_f64 v[4:5], v[16:17], v[4:5], v[14:15]
	ds_read2st64_b64 v[14:17], v36 offset0:16 offset1:32
	s_waitcnt lgkmcnt(0)
	v_fma_f64 v[22:23], -v[4:5], v[14:15], v[22:23]
	v_div_fixup_f64 v[20:21], v[24:25], v[12:13], v[20:21]
	v_fma_f64 v[16:17], -v[4:5], v[16:17], v[18:19]
	ds_read2st64_b64 v[12:15], v6 offset0:16 offset1:32
	v_mul_f64 v[2:3], v[4:5], -v[2:3]
	v_sub_u32_e64 v18, v0, s2 clamp
	v_lshlrev_b32_e32 v36, 3, v18
	s_waitcnt lgkmcnt(0)
	s_barrier
	v_mul_f64 v[4:5], v[20:21], -v[12:13]
	v_fma_f64 v[10:11], -v[20:21], v[10:11], v[22:23]
	v_fma_f64 v[12:13], -v[20:21], v[14:15], v[16:17]
	ds_write_b64 v7, v[2:3]
	ds_write_b64 v9, v[4:5]
	;; [unrolled: 1-line block ×3, first 2 shown]
	ds_write_b64 v7, v[12:13] offset:16384
	s_waitcnt lgkmcnt(0)
	s_barrier
	ds_read_b64 v[14:15], v7
	ds_read2st64_b64 v[2:5], v36 offset1:8
	v_add_u32_e32 v6, 0x80, v0
	v_min_i32_e32 v6, s4, v6
	v_lshlrev_b32_e32 v6, 3, v6
	ds_read_b64 v[18:19], v7 offset:16384
	s_waitcnt lgkmcnt(1)
	v_div_scale_f64 v[16:17], s[2:3], v[4:5], v[4:5], v[14:15]
	ds_read2st64_b64 v[10:13], v6 offset1:8
	ds_read_b64 v[20:21], v9
	ds_read_b64 v[22:23], v8
	s_waitcnt lgkmcnt(1)
	v_div_scale_f64 v[24:25], s[2:3], v[12:13], v[12:13], v[20:21]
	v_rcp_f64_e32 v[26:27], v[16:17]
	v_rcp_f64_e32 v[28:29], v[24:25]
	v_fma_f64 v[30:31], -v[16:17], v[26:27], 1.0
	v_fma_f64 v[32:33], -v[24:25], v[28:29], 1.0
	v_fma_f64 v[26:27], v[26:27], v[30:31], v[26:27]
	v_fma_f64 v[28:29], v[28:29], v[32:33], v[28:29]
	v_div_scale_f64 v[32:33], vcc, v[14:15], v[4:5], v[14:15]
	v_fma_f64 v[30:31], -v[16:17], v[26:27], 1.0
	v_fma_f64 v[34:35], -v[24:25], v[28:29], 1.0
	v_fma_f64 v[26:27], v[26:27], v[30:31], v[26:27]
	v_div_scale_f64 v[30:31], s[2:3], v[20:21], v[12:13], v[20:21]
	v_fma_f64 v[28:29], v[28:29], v[34:35], v[28:29]
	v_mul_f64 v[34:35], v[32:33], v[26:27]
	v_fma_f64 v[16:17], -v[16:17], v[34:35], v[32:33]
	v_mul_f64 v[32:33], v[30:31], v[28:29]
	v_div_fmas_f64 v[16:17], v[16:17], v[26:27], v[34:35]
	v_fma_f64 v[24:25], -v[24:25], v[32:33], v[30:31]
	s_mov_b64 vcc, s[2:3]
	s_movk_i32 s2, 0x100
	v_div_fmas_f64 v[24:25], v[24:25], v[28:29], v[32:33]
	v_cmp_gt_u32_e32 vcc, s2, v0
	v_div_fixup_f64 v[4:5], v[16:17], v[4:5], v[14:15]
	ds_read2st64_b64 v[14:17], v36 offset0:16 offset1:32
	s_waitcnt lgkmcnt(0)
	v_fma_f64 v[22:23], -v[4:5], v[14:15], v[22:23]
	v_div_fixup_f64 v[20:21], v[24:25], v[12:13], v[20:21]
	v_fma_f64 v[16:17], -v[4:5], v[16:17], v[18:19]
	ds_read2st64_b64 v[12:15], v6 offset0:16 offset1:32
	v_mul_f64 v[2:3], v[4:5], -v[2:3]
	s_waitcnt lgkmcnt(0)
	s_barrier
	v_mul_f64 v[4:5], v[20:21], -v[12:13]
	v_fma_f64 v[10:11], -v[20:21], v[10:11], v[22:23]
	v_fma_f64 v[12:13], -v[20:21], v[14:15], v[16:17]
	ds_write_b64 v7, v[2:3]
	ds_write_b64 v9, v[4:5]
	;; [unrolled: 1-line block ×3, first 2 shown]
	ds_write_b64 v7, v[12:13] offset:16384
	s_waitcnt lgkmcnt(0)
	s_barrier
	s_and_saveexec_b64 s[2:3], vcc
	s_cbranch_execz .LBB41_14
; %bb.9:
	v_or_b32_e32 v4, 0x100, v0
	v_or_b32_e32 v5, 0x4000, v7
	v_cmp_le_i32_e32 vcc, s7, v4
                                        ; implicit-def: $vgpr2_vgpr3
	s_and_saveexec_b64 s[4:5], vcc
	s_xor_b64 s[4:5], exec, s[4:5]
	s_cbranch_execz .LBB41_11
; %bb.10:
	ds_read_b64 v[2:3], v5
	ds_read_b64 v[4:5], v8
	s_waitcnt lgkmcnt(0)
	v_div_scale_f64 v[8:9], s[6:7], v[4:5], v[4:5], v[2:3]
	v_div_scale_f64 v[14:15], vcc, v[2:3], v[4:5], v[2:3]
	v_rcp_f64_e32 v[10:11], v[8:9]
	v_fma_f64 v[12:13], -v[8:9], v[10:11], 1.0
	v_fma_f64 v[10:11], v[10:11], v[12:13], v[10:11]
	v_fma_f64 v[12:13], -v[8:9], v[10:11], 1.0
	v_fma_f64 v[10:11], v[10:11], v[12:13], v[10:11]
	v_mul_f64 v[12:13], v[14:15], v[10:11]
	v_fma_f64 v[8:9], -v[8:9], v[12:13], v[14:15]
	v_div_fmas_f64 v[8:9], v[8:9], v[10:11], v[12:13]
	v_div_fixup_f64 v[2:3], v[8:9], v[4:5], v[2:3]
                                        ; implicit-def: $vgpr8
                                        ; implicit-def: $vgpr9
                                        ; implicit-def: $vgpr5
                                        ; implicit-def: $vgpr4
.LBB41_11:
	s_andn2_saveexec_b64 s[4:5], s[4:5]
	s_cbranch_execz .LBB41_13
; %bb.12:
	ds_read_b64 v[2:3], v9
	ds_read_b64 v[16:17], v7 offset:2048
	ds_read2st64_b64 v[8:11], v8 offset1:4
	v_mov_b32_e32 v0, v4
	s_waitcnt lgkmcnt(1)
	v_mul_f64 v[12:13], v[2:3], v[16:17]
	s_waitcnt lgkmcnt(0)
	v_fma_f64 v[18:19], v[10:11], v[8:9], -v[12:13]
	v_div_scale_f64 v[12:13], s[6:7], v[18:19], v[18:19], 1.0
	v_rcp_f64_e32 v[14:15], v[12:13]
	v_fma_f64 v[20:21], -v[12:13], v[14:15], 1.0
	v_fma_f64 v[14:15], v[14:15], v[20:21], v[14:15]
	v_div_scale_f64 v[20:21], vcc, 1.0, v[18:19], 1.0
	v_fma_f64 v[22:23], -v[12:13], v[14:15], 1.0
	v_fma_f64 v[14:15], v[14:15], v[22:23], v[14:15]
	v_mul_f64 v[22:23], v[20:21], v[14:15]
	v_fma_f64 v[12:13], -v[12:13], v[22:23], v[20:21]
	v_div_fmas_f64 v[20:21], v[12:13], v[14:15], v[22:23]
	ds_read2st64_b64 v[12:15], v5 offset1:4
	s_waitcnt lgkmcnt(0)
	v_mul_f64 v[2:3], v[2:3], v[14:15]
	v_mul_f64 v[5:6], v[16:17], v[12:13]
	v_fma_f64 v[2:3], v[10:11], v[12:13], -v[2:3]
	v_fma_f64 v[5:6], v[8:9], v[14:15], -v[5:6]
	v_div_fixup_f64 v[10:11], v[20:21], v[18:19], 1.0
	v_mul_f64 v[8:9], v[10:11], v[2:3]
	v_mul_f64 v[2:3], v[10:11], v[5:6]
	ds_write_b64 v7, v[8:9] offset:12288
.LBB41_13:
	s_or_b64 exec, exec, s[4:5]
	v_lshlrev_b32_e32 v0, 3, v0
	ds_write_b64 v0, v[2:3] offset:12288
.LBB41_14:
	s_or_b64 exec, exec, s[2:3]
	s_waitcnt lgkmcnt(0)
	s_barrier
	s_and_saveexec_b64 s[2:3], s[0:1]
	s_cbranch_execz .LBB41_16
; %bb.15:
	v_mov_b32_e32 v2, 0
	v_lshlrev_b64 v[0:1], 3, v[1:2]
	ds_read_b64 v[2:3], v7 offset:12288
	v_mov_b32_e32 v4, s9
	v_add_co_u32_e32 v0, vcc, s8, v0
	v_addc_co_u32_e32 v1, vcc, v4, v1, vcc
	s_waitcnt lgkmcnt(0)
	global_store_dwordx2 v[0:1], v[2:3], off
.LBB41_16:
	s_endpgm
	.section	.rodata,"a",@progbits
	.p2align	6, 0x0
	.amdhsa_kernel _ZN9rocsparseL30gtsv_nopivot_pcr_shared_kernelILj512EdEEviiiPKT0_S3_S3_PS1_
		.amdhsa_group_segment_fixed_size 20480
		.amdhsa_private_segment_fixed_size 0
		.amdhsa_kernarg_size 48
		.amdhsa_user_sgpr_count 6
		.amdhsa_user_sgpr_private_segment_buffer 1
		.amdhsa_user_sgpr_dispatch_ptr 0
		.amdhsa_user_sgpr_queue_ptr 0
		.amdhsa_user_sgpr_kernarg_segment_ptr 1
		.amdhsa_user_sgpr_dispatch_id 0
		.amdhsa_user_sgpr_flat_scratch_init 0
		.amdhsa_user_sgpr_private_segment_size 0
		.amdhsa_uses_dynamic_stack 0
		.amdhsa_system_sgpr_private_segment_wavefront_offset 0
		.amdhsa_system_sgpr_workgroup_id_x 1
		.amdhsa_system_sgpr_workgroup_id_y 0
		.amdhsa_system_sgpr_workgroup_id_z 0
		.amdhsa_system_sgpr_workgroup_info 0
		.amdhsa_system_vgpr_workitem_id 0
		.amdhsa_next_free_vgpr 37
		.amdhsa_next_free_sgpr 93
		.amdhsa_reserve_vcc 1
		.amdhsa_reserve_flat_scratch 0
		.amdhsa_float_round_mode_32 0
		.amdhsa_float_round_mode_16_64 0
		.amdhsa_float_denorm_mode_32 3
		.amdhsa_float_denorm_mode_16_64 3
		.amdhsa_dx10_clamp 1
		.amdhsa_ieee_mode 1
		.amdhsa_fp16_overflow 0
		.amdhsa_exception_fp_ieee_invalid_op 0
		.amdhsa_exception_fp_denorm_src 0
		.amdhsa_exception_fp_ieee_div_zero 0
		.amdhsa_exception_fp_ieee_overflow 0
		.amdhsa_exception_fp_ieee_underflow 0
		.amdhsa_exception_fp_ieee_inexact 0
		.amdhsa_exception_int_div_zero 0
	.end_amdhsa_kernel
	.section	.text._ZN9rocsparseL30gtsv_nopivot_pcr_shared_kernelILj512EdEEviiiPKT0_S3_S3_PS1_,"axG",@progbits,_ZN9rocsparseL30gtsv_nopivot_pcr_shared_kernelILj512EdEEviiiPKT0_S3_S3_PS1_,comdat
.Lfunc_end41:
	.size	_ZN9rocsparseL30gtsv_nopivot_pcr_shared_kernelILj512EdEEviiiPKT0_S3_S3_PS1_, .Lfunc_end41-_ZN9rocsparseL30gtsv_nopivot_pcr_shared_kernelILj512EdEEviiiPKT0_S3_S3_PS1_
                                        ; -- End function
	.set _ZN9rocsparseL30gtsv_nopivot_pcr_shared_kernelILj512EdEEviiiPKT0_S3_S3_PS1_.num_vgpr, 37
	.set _ZN9rocsparseL30gtsv_nopivot_pcr_shared_kernelILj512EdEEviiiPKT0_S3_S3_PS1_.num_agpr, 0
	.set _ZN9rocsparseL30gtsv_nopivot_pcr_shared_kernelILj512EdEEviiiPKT0_S3_S3_PS1_.numbered_sgpr, 12
	.set _ZN9rocsparseL30gtsv_nopivot_pcr_shared_kernelILj512EdEEviiiPKT0_S3_S3_PS1_.num_named_barrier, 0
	.set _ZN9rocsparseL30gtsv_nopivot_pcr_shared_kernelILj512EdEEviiiPKT0_S3_S3_PS1_.private_seg_size, 0
	.set _ZN9rocsparseL30gtsv_nopivot_pcr_shared_kernelILj512EdEEviiiPKT0_S3_S3_PS1_.uses_vcc, 1
	.set _ZN9rocsparseL30gtsv_nopivot_pcr_shared_kernelILj512EdEEviiiPKT0_S3_S3_PS1_.uses_flat_scratch, 0
	.set _ZN9rocsparseL30gtsv_nopivot_pcr_shared_kernelILj512EdEEviiiPKT0_S3_S3_PS1_.has_dyn_sized_stack, 0
	.set _ZN9rocsparseL30gtsv_nopivot_pcr_shared_kernelILj512EdEEviiiPKT0_S3_S3_PS1_.has_recursion, 0
	.set _ZN9rocsparseL30gtsv_nopivot_pcr_shared_kernelILj512EdEEviiiPKT0_S3_S3_PS1_.has_indirect_call, 0
	.section	.AMDGPU.csdata,"",@progbits
; Kernel info:
; codeLenInByte = 3700
; TotalNumSgprs: 16
; NumVgprs: 37
; ScratchSize: 0
; MemoryBound: 1
; FloatMode: 240
; IeeeMode: 1
; LDSByteSize: 20480 bytes/workgroup (compile time only)
; SGPRBlocks: 12
; VGPRBlocks: 9
; NumSGPRsForWavesPerEU: 97
; NumVGPRsForWavesPerEU: 37
; Occupancy: 6
; WaveLimiterHint : 1
; COMPUTE_PGM_RSRC2:SCRATCH_EN: 0
; COMPUTE_PGM_RSRC2:USER_SGPR: 6
; COMPUTE_PGM_RSRC2:TRAP_HANDLER: 0
; COMPUTE_PGM_RSRC2:TGID_X_EN: 1
; COMPUTE_PGM_RSRC2:TGID_Y_EN: 0
; COMPUTE_PGM_RSRC2:TGID_Z_EN: 0
; COMPUTE_PGM_RSRC2:TIDIG_COMP_CNT: 0
	.section	.text._ZN9rocsparseL37gtsv_nopivot_pcr_pow2_stage1_n_kernelILj256EdEEviiiiPKT0_S3_S3_S3_PS1_S4_S4_S4_,"axG",@progbits,_ZN9rocsparseL37gtsv_nopivot_pcr_pow2_stage1_n_kernelILj256EdEEviiiiPKT0_S3_S3_S3_PS1_S4_S4_S4_,comdat
	.globl	_ZN9rocsparseL37gtsv_nopivot_pcr_pow2_stage1_n_kernelILj256EdEEviiiiPKT0_S3_S3_S3_PS1_S4_S4_S4_ ; -- Begin function _ZN9rocsparseL37gtsv_nopivot_pcr_pow2_stage1_n_kernelILj256EdEEviiiiPKT0_S3_S3_S3_PS1_S4_S4_S4_
	.p2align	8
	.type	_ZN9rocsparseL37gtsv_nopivot_pcr_pow2_stage1_n_kernelILj256EdEEviiiiPKT0_S3_S3_S3_PS1_S4_S4_S4_,@function
_ZN9rocsparseL37gtsv_nopivot_pcr_pow2_stage1_n_kernelILj256EdEEviiiiPKT0_S3_S3_S3_PS1_S4_S4_S4_: ; @_ZN9rocsparseL37gtsv_nopivot_pcr_pow2_stage1_n_kernelILj256EdEEviiiiPKT0_S3_S3_S3_PS1_S4_S4_S4_
; %bb.0:
	s_load_dwordx8 s[8:15], s[4:5], 0x30
	s_load_dwordx2 s[24:25], s[4:5], 0x0
	s_load_dword s26, s[4:5], 0xc
	s_load_dwordx8 s[16:23], s[4:5], 0x10
	v_lshl_or_b32 v0, s6, 8, v0
	s_mov_b32 s3, 0
	s_waitcnt lgkmcnt(0)
	v_add_u32_e32 v1, s24, v0
	s_add_i32 s0, s25, -1
	v_min_i32_e32 v2, s0, v1
	v_subrev_u32_e32 v1, s24, v0
	v_max_i32_e32 v3, 0, v1
	v_ashrrev_i32_e32 v1, 31, v0
	v_lshlrev_b64 v[0:1], 3, v[0:1]
	v_mov_b32_e32 v21, s17
	v_add_co_u32_e32 v4, vcc, s16, v0
	v_addc_co_u32_e32 v5, vcc, v21, v1, vcc
	global_load_dwordx2 v[5:6], v[4:5], off
	v_mov_b32_e32 v4, 0
	v_lshlrev_b64 v[7:8], 3, v[3:4]
	v_mov_b32_e32 v22, s19
	v_add_co_u32_e32 v3, vcc, s18, v7
	v_addc_co_u32_e32 v4, vcc, v22, v8, vcc
	global_load_dwordx2 v[3:4], v[3:4], off
	s_mul_i32 s2, s25, s7
	s_lshl_b64 s[4:5], s[2:3], 3
	s_add_u32 s1, s14, s4
	s_mul_i32 s2, s26, s7
	s_addc_u32 s0, s15, s5
	s_lshl_b64 s[4:5], s[2:3], 3
	s_add_u32 s3, s22, s4
	s_addc_u32 s2, s23, s5
	s_waitcnt vmcnt(0)
	v_div_scale_f64 v[9:10], s[4:5], v[3:4], v[3:4], v[5:6]
	v_rcp_f64_e32 v[11:12], v[9:10]
	v_fma_f64 v[13:14], -v[9:10], v[11:12], 1.0
	v_fma_f64 v[11:12], v[11:12], v[13:14], v[11:12]
	v_fma_f64 v[13:14], -v[9:10], v[11:12], 1.0
	v_fma_f64 v[11:12], v[11:12], v[13:14], v[11:12]
	v_div_scale_f64 v[13:14], vcc, v[5:6], v[3:4], v[5:6]
	v_mul_f64 v[15:16], v[13:14], v[11:12]
	v_fma_f64 v[9:10], -v[9:10], v[15:16], v[13:14]
	s_nop 1
	v_div_fmas_f64 v[9:10], v[9:10], v[11:12], v[15:16]
	v_div_fixup_f64 v[4:5], v[9:10], v[3:4], v[5:6]
	v_ashrrev_i32_e32 v3, 31, v2
	v_add_co_u32_e32 v9, vcc, s20, v0
	v_mov_b32_e32 v6, s21
	v_lshlrev_b64 v[2:3], 3, v[2:3]
	v_addc_co_u32_e32 v10, vcc, v6, v1, vcc
	v_add_co_u32_e32 v11, vcc, s18, v2
	v_addc_co_u32_e32 v12, vcc, v22, v3, vcc
	global_load_dwordx2 v[9:10], v[9:10], off
	s_nop 0
	global_load_dwordx2 v[11:12], v[11:12], off
	s_waitcnt vmcnt(0)
	v_div_scale_f64 v[13:14], s[4:5], v[11:12], v[11:12], v[9:10]
	v_rcp_f64_e32 v[15:16], v[13:14]
	v_fma_f64 v[17:18], -v[13:14], v[15:16], 1.0
	v_fma_f64 v[15:16], v[15:16], v[17:18], v[15:16]
	v_fma_f64 v[17:18], -v[13:14], v[15:16], 1.0
	v_fma_f64 v[15:16], v[15:16], v[17:18], v[15:16]
	v_div_scale_f64 v[17:18], vcc, v[9:10], v[11:12], v[9:10]
	v_mul_f64 v[19:20], v[17:18], v[15:16]
	v_fma_f64 v[13:14], -v[13:14], v[19:20], v[17:18]
	s_nop 1
	v_div_fmas_f64 v[13:14], v[13:14], v[15:16], v[19:20]
	v_div_fixup_f64 v[9:10], v[13:14], v[11:12], v[9:10]
	v_add_co_u32_e32 v11, vcc, s16, v7
	v_addc_co_u32_e32 v12, vcc, v21, v8, vcc
	v_add_co_u32_e32 v13, vcc, s20, v2
	v_addc_co_u32_e32 v14, vcc, v6, v3, vcc
	;; [unrolled: 2-line block ×4, first 2 shown]
	global_load_dwordx2 v[15:16], v[15:16], off
	v_mov_b32_e32 v6, s11
	global_load_dwordx2 v[17:18], v[17:18], off
	s_waitcnt vmcnt(0)
	v_fma_f64 v[15:16], -v[4:5], v[17:18], v[15:16]
	v_add_co_u32_e32 v17, vcc, s16, v2
	v_addc_co_u32_e32 v18, vcc, v21, v3, vcc
	global_load_dwordx2 v[17:18], v[17:18], off
	s_waitcnt vmcnt(0)
	v_fma_f64 v[15:16], -v[9:10], v[17:18], v[15:16]
	global_load_dwordx2 v[11:12], v[11:12], off
	v_add_co_u32_e32 v17, vcc, s10, v0
	global_load_dwordx2 v[13:14], v[13:14], off
	v_addc_co_u32_e32 v18, vcc, v6, v1, vcc
	v_mov_b32_e32 v6, s9
	global_store_dwordx2 v[17:18], v[15:16], off
	v_add_co_u32_e32 v15, vcc, s8, v0
	v_addc_co_u32_e32 v16, vcc, v6, v1, vcc
	v_mov_b32_e32 v6, s13
	s_waitcnt vmcnt(2)
	v_mul_f64 v[11:12], v[4:5], -v[11:12]
	global_store_dwordx2 v[15:16], v[11:12], off
	s_waitcnt vmcnt(2)
	v_mul_f64 v[11:12], v[9:10], -v[13:14]
	v_add_co_u32_e32 v13, vcc, s12, v0
	v_addc_co_u32_e32 v14, vcc, v6, v1, vcc
	v_add_co_u32_e32 v2, vcc, s3, v2
	v_mov_b32_e32 v6, s2
	v_addc_co_u32_e32 v3, vcc, v6, v3, vcc
	v_add_co_u32_e32 v6, vcc, s3, v7
	v_mov_b32_e32 v7, s2
	v_addc_co_u32_e32 v7, vcc, v7, v8, vcc
	global_store_dwordx2 v[13:14], v[11:12], off
	v_add_co_u32_e32 v11, vcc, s3, v0
	v_mov_b32_e32 v8, s2
	v_addc_co_u32_e32 v12, vcc, v8, v1, vcc
	global_load_dwordx2 v[2:3], v[2:3], off
	v_add_co_u32_e32 v0, vcc, s1, v0
	global_load_dwordx2 v[6:7], v[6:7], off
	s_nop 0
	global_load_dwordx2 v[11:12], v[11:12], off
	s_waitcnt vmcnt(0)
	v_fma_f64 v[4:5], -v[4:5], v[6:7], v[11:12]
	v_fma_f64 v[2:3], -v[9:10], v[2:3], v[4:5]
	v_mov_b32_e32 v4, s0
	v_addc_co_u32_e32 v1, vcc, v4, v1, vcc
	global_store_dwordx2 v[0:1], v[2:3], off
	s_endpgm
	.section	.rodata,"a",@progbits
	.p2align	6, 0x0
	.amdhsa_kernel _ZN9rocsparseL37gtsv_nopivot_pcr_pow2_stage1_n_kernelILj256EdEEviiiiPKT0_S3_S3_S3_PS1_S4_S4_S4_
		.amdhsa_group_segment_fixed_size 0
		.amdhsa_private_segment_fixed_size 0
		.amdhsa_kernarg_size 80
		.amdhsa_user_sgpr_count 6
		.amdhsa_user_sgpr_private_segment_buffer 1
		.amdhsa_user_sgpr_dispatch_ptr 0
		.amdhsa_user_sgpr_queue_ptr 0
		.amdhsa_user_sgpr_kernarg_segment_ptr 1
		.amdhsa_user_sgpr_dispatch_id 0
		.amdhsa_user_sgpr_flat_scratch_init 0
		.amdhsa_user_sgpr_private_segment_size 0
		.amdhsa_uses_dynamic_stack 0
		.amdhsa_system_sgpr_private_segment_wavefront_offset 0
		.amdhsa_system_sgpr_workgroup_id_x 1
		.amdhsa_system_sgpr_workgroup_id_y 1
		.amdhsa_system_sgpr_workgroup_id_z 0
		.amdhsa_system_sgpr_workgroup_info 0
		.amdhsa_system_vgpr_workitem_id 0
		.amdhsa_next_free_vgpr 23
		.amdhsa_next_free_sgpr 27
		.amdhsa_reserve_vcc 1
		.amdhsa_reserve_flat_scratch 0
		.amdhsa_float_round_mode_32 0
		.amdhsa_float_round_mode_16_64 0
		.amdhsa_float_denorm_mode_32 3
		.amdhsa_float_denorm_mode_16_64 3
		.amdhsa_dx10_clamp 1
		.amdhsa_ieee_mode 1
		.amdhsa_fp16_overflow 0
		.amdhsa_exception_fp_ieee_invalid_op 0
		.amdhsa_exception_fp_denorm_src 0
		.amdhsa_exception_fp_ieee_div_zero 0
		.amdhsa_exception_fp_ieee_overflow 0
		.amdhsa_exception_fp_ieee_underflow 0
		.amdhsa_exception_fp_ieee_inexact 0
		.amdhsa_exception_int_div_zero 0
	.end_amdhsa_kernel
	.section	.text._ZN9rocsparseL37gtsv_nopivot_pcr_pow2_stage1_n_kernelILj256EdEEviiiiPKT0_S3_S3_S3_PS1_S4_S4_S4_,"axG",@progbits,_ZN9rocsparseL37gtsv_nopivot_pcr_pow2_stage1_n_kernelILj256EdEEviiiiPKT0_S3_S3_S3_PS1_S4_S4_S4_,comdat
.Lfunc_end42:
	.size	_ZN9rocsparseL37gtsv_nopivot_pcr_pow2_stage1_n_kernelILj256EdEEviiiiPKT0_S3_S3_S3_PS1_S4_S4_S4_, .Lfunc_end42-_ZN9rocsparseL37gtsv_nopivot_pcr_pow2_stage1_n_kernelILj256EdEEviiiiPKT0_S3_S3_S3_PS1_S4_S4_S4_
                                        ; -- End function
	.set _ZN9rocsparseL37gtsv_nopivot_pcr_pow2_stage1_n_kernelILj256EdEEviiiiPKT0_S3_S3_S3_PS1_S4_S4_S4_.num_vgpr, 23
	.set _ZN9rocsparseL37gtsv_nopivot_pcr_pow2_stage1_n_kernelILj256EdEEviiiiPKT0_S3_S3_S3_PS1_S4_S4_S4_.num_agpr, 0
	.set _ZN9rocsparseL37gtsv_nopivot_pcr_pow2_stage1_n_kernelILj256EdEEviiiiPKT0_S3_S3_S3_PS1_S4_S4_S4_.numbered_sgpr, 27
	.set _ZN9rocsparseL37gtsv_nopivot_pcr_pow2_stage1_n_kernelILj256EdEEviiiiPKT0_S3_S3_S3_PS1_S4_S4_S4_.num_named_barrier, 0
	.set _ZN9rocsparseL37gtsv_nopivot_pcr_pow2_stage1_n_kernelILj256EdEEviiiiPKT0_S3_S3_S3_PS1_S4_S4_S4_.private_seg_size, 0
	.set _ZN9rocsparseL37gtsv_nopivot_pcr_pow2_stage1_n_kernelILj256EdEEviiiiPKT0_S3_S3_S3_PS1_S4_S4_S4_.uses_vcc, 1
	.set _ZN9rocsparseL37gtsv_nopivot_pcr_pow2_stage1_n_kernelILj256EdEEviiiiPKT0_S3_S3_S3_PS1_S4_S4_S4_.uses_flat_scratch, 0
	.set _ZN9rocsparseL37gtsv_nopivot_pcr_pow2_stage1_n_kernelILj256EdEEviiiiPKT0_S3_S3_S3_PS1_S4_S4_S4_.has_dyn_sized_stack, 0
	.set _ZN9rocsparseL37gtsv_nopivot_pcr_pow2_stage1_n_kernelILj256EdEEviiiiPKT0_S3_S3_S3_PS1_S4_S4_S4_.has_recursion, 0
	.set _ZN9rocsparseL37gtsv_nopivot_pcr_pow2_stage1_n_kernelILj256EdEEviiiiPKT0_S3_S3_S3_PS1_S4_S4_S4_.has_indirect_call, 0
	.section	.AMDGPU.csdata,"",@progbits
; Kernel info:
; codeLenInByte = 696
; TotalNumSgprs: 31
; NumVgprs: 23
; ScratchSize: 0
; MemoryBound: 0
; FloatMode: 240
; IeeeMode: 1
; LDSByteSize: 0 bytes/workgroup (compile time only)
; SGPRBlocks: 3
; VGPRBlocks: 5
; NumSGPRsForWavesPerEU: 31
; NumVGPRsForWavesPerEU: 23
; Occupancy: 10
; WaveLimiterHint : 0
; COMPUTE_PGM_RSRC2:SCRATCH_EN: 0
; COMPUTE_PGM_RSRC2:USER_SGPR: 6
; COMPUTE_PGM_RSRC2:TRAP_HANDLER: 0
; COMPUTE_PGM_RSRC2:TGID_X_EN: 1
; COMPUTE_PGM_RSRC2:TGID_Y_EN: 1
; COMPUTE_PGM_RSRC2:TGID_Z_EN: 0
; COMPUTE_PGM_RSRC2:TIDIG_COMP_CNT: 0
	.section	.text._ZN9rocsparseL34gtsv_nopivot_cr_pow2_stage2_kernelILj256EdEEviiiPKT0_S3_S3_S3_PS1_,"axG",@progbits,_ZN9rocsparseL34gtsv_nopivot_cr_pow2_stage2_kernelILj256EdEEviiiPKT0_S3_S3_S3_PS1_,comdat
	.globl	_ZN9rocsparseL34gtsv_nopivot_cr_pow2_stage2_kernelILj256EdEEviiiPKT0_S3_S3_S3_PS1_ ; -- Begin function _ZN9rocsparseL34gtsv_nopivot_cr_pow2_stage2_kernelILj256EdEEviiiPKT0_S3_S3_S3_PS1_
	.p2align	8
	.type	_ZN9rocsparseL34gtsv_nopivot_cr_pow2_stage2_kernelILj256EdEEviiiPKT0_S3_S3_S3_PS1_,@function
_ZN9rocsparseL34gtsv_nopivot_cr_pow2_stage2_kernelILj256EdEEviiiPKT0_S3_S3_S3_PS1_: ; @_ZN9rocsparseL34gtsv_nopivot_cr_pow2_stage2_kernelILj256EdEEviiiPKT0_S3_S3_S3_PS1_
; %bb.0:
	s_load_dword s0, s[4:5], 0x38
	s_load_dwordx8 s[8:15], s[4:5], 0x10
	v_mov_b32_e32 v2, 0
	s_load_dword s1, s[4:5], 0x0
	v_mov_b32_e32 v20, v2
	s_waitcnt lgkmcnt(0)
	v_mul_lo_u32 v1, s0, v0
	v_mov_b32_e32 v16, s9
	v_mov_b32_e32 v18, s11
	v_mov_b32_e32 v19, s13
	v_add_u32_e32 v1, s6, v1
	v_lshlrev_b64 v[3:4], 3, v[1:2]
	s_mul_i32 s1, s1, s7
	v_add_co_u32_e32 v5, vcc, s8, v3
	v_addc_co_u32_e32 v6, vcc, v16, v4, vcc
	v_add_co_u32_e32 v7, vcc, s10, v3
	v_addc_co_u32_e32 v8, vcc, v18, v4, vcc
	;; [unrolled: 2-line block ×3, first 2 shown]
	global_load_dwordx2 v[9:10], v[3:4], off
	v_add_u32_e32 v3, s1, v1
	v_mov_b32_e32 v4, v2
	v_lshlrev_b64 v[3:4], 3, v[3:4]
	v_mov_b32_e32 v21, s15
	v_add_co_u32_e32 v3, vcc, s14, v3
	v_addc_co_u32_e32 v4, vcc, v21, v4, vcc
	global_load_dwordx2 v[11:12], v[3:4], off
	v_lshl_add_u32 v3, s0, 8, v1
	v_mov_b32_e32 v4, v2
	v_lshlrev_b64 v[13:14], 3, v[3:4]
	global_load_dwordx2 v[5:6], v[5:6], off
	v_add_co_u32_e32 v15, vcc, s8, v13
	v_addc_co_u32_e32 v16, vcc, v16, v14, vcc
	v_add_co_u32_e32 v17, vcc, s10, v13
	v_addc_co_u32_e32 v18, vcc, v18, v14, vcc
	;; [unrolled: 2-line block ×3, first 2 shown]
	v_add_u32_e32 v19, s1, v3
	v_lshlrev_b64 v[19:20], 3, v[19:20]
	global_load_dwordx2 v[15:16], v[15:16], off
	v_add_co_u32_e32 v19, vcc, s14, v19
	global_load_dwordx2 v[7:8], v[7:8], off
	v_addc_co_u32_e32 v20, vcc, v21, v20, vcc
	global_load_dwordx2 v[17:18], v[17:18], off
	s_mov_b32 s0, 0
	global_load_dwordx2 v[13:14], v[13:14], off
	s_mov_b32 s1, s0
	global_load_dwordx2 v[19:20], v[19:20], off
	s_movk_i32 s2, 0x100
	v_mov_b32_e32 v22, s1
	v_lshlrev_b32_e32 v2, 3, v0
	v_add_u32_e32 v4, 1, v0
	v_mov_b32_e32 v21, s0
	v_cmp_gt_u32_e64 s[0:1], s2, v0
	ds_write2st64_b64 v2, v[21:22], v[21:22] offset0:24 offset1:28
	s_waitcnt vmcnt(4)
	ds_write2st64_b64 v2, v[5:6], v[15:16] offset1:4
	s_waitcnt vmcnt(2)
	ds_write2st64_b64 v2, v[7:8], v[17:18] offset0:8 offset1:12
	s_waitcnt vmcnt(1)
	ds_write2st64_b64 v2, v[9:10], v[13:14] offset0:16 offset1:20
	;; [unrolled: 2-line block ×3, first 2 shown]
	s_waitcnt lgkmcnt(0)
	s_barrier
	s_and_saveexec_b64 s[8:9], s[0:1]
	s_cbranch_execz .LBB43_2
; %bb.1:
	v_lshlrev_b32_e32 v41, 4, v4
	v_add_u32_e32 v5, -16, v41
	ds_read_b128 v[5:8], v5
	ds_read_b128 v[9:12], v41 offset:4080
	v_lshlrev_b32_e32 v13, 1, v4
	v_min_u32_e32 v21, 0x1ff, v13
	v_lshlrev_b32_e32 v42, 3, v21
	ds_read_b128 v[13:16], v41 offset:8176
	ds_read_b128 v[17:20], v41 offset:16368
	s_waitcnt lgkmcnt(2)
	v_div_scale_f64 v[25:26], s[2:3], v[9:10], v[9:10], v[7:8]
	ds_read2st64_b64 v[21:24], v42 offset1:8
	s_waitcnt lgkmcnt(0)
	v_div_scale_f64 v[27:28], s[2:3], v[23:24], v[23:24], v[15:16]
	v_div_scale_f64 v[37:38], s[2:3], v[15:16], v[23:24], v[15:16]
	v_rcp_f64_e32 v[29:30], v[25:26]
	v_rcp_f64_e32 v[31:32], v[27:28]
	v_fma_f64 v[33:34], -v[25:26], v[29:30], 1.0
	v_fma_f64 v[35:36], -v[27:28], v[31:32], 1.0
	v_fma_f64 v[29:30], v[29:30], v[33:34], v[29:30]
	v_div_scale_f64 v[33:34], vcc, v[7:8], v[9:10], v[7:8]
	v_fma_f64 v[31:32], v[31:32], v[35:36], v[31:32]
	v_fma_f64 v[35:36], -v[25:26], v[29:30], 1.0
	v_fma_f64 v[39:40], -v[27:28], v[31:32], 1.0
	v_fma_f64 v[29:30], v[29:30], v[35:36], v[29:30]
	v_fma_f64 v[31:32], v[31:32], v[39:40], v[31:32]
	v_mul_f64 v[35:36], v[33:34], v[29:30]
	v_mul_f64 v[39:40], v[37:38], v[31:32]
	v_fma_f64 v[25:26], -v[25:26], v[35:36], v[33:34]
	v_fma_f64 v[27:28], -v[27:28], v[39:40], v[37:38]
	v_div_fmas_f64 v[25:26], v[25:26], v[29:30], v[35:36]
	s_mov_b64 vcc, s[2:3]
	v_div_fmas_f64 v[27:28], v[27:28], v[31:32], v[39:40]
	v_div_fixup_f64 v[25:26], v[25:26], v[9:10], v[7:8]
	ds_read2st64_b64 v[7:10], v42 offset0:16 offset1:32
	v_div_fixup_f64 v[15:16], v[27:28], v[23:24], v[15:16]
	v_fma_f64 v[17:18], -v[25:26], v[17:18], v[19:20]
	v_fma_f64 v[11:12], -v[25:26], v[13:14], v[11:12]
	v_mul_f64 v[5:6], v[25:26], -v[5:6]
	v_add_u32_e32 v13, -8, v41
	v_add_u32_e32 v14, 0x1f8, v41
	s_waitcnt lgkmcnt(0)
	v_mul_f64 v[7:8], v[15:16], -v[7:8]
	v_fma_f64 v[9:10], -v[15:16], v[9:10], v[17:18]
	v_fma_f64 v[11:12], -v[15:16], v[21:22], v[11:12]
	ds_write_b64 v13, v[5:6]
	ds_write_b64 v41, v[9:10] offset:16376
	ds_write2st64_b64 v14, v[11:12], v[7:8] offset0:7 offset1:15
.LBB43_2:
	s_or_b64 exec, exec, s[8:9]
	s_movk_i32 s2, 0x80
	v_cmp_gt_u32_e64 s[2:3], s2, v0
	s_waitcnt lgkmcnt(0)
	s_barrier
	s_and_saveexec_b64 s[10:11], s[2:3]
	s_cbranch_execz .LBB43_4
; %bb.3:
	v_lshlrev_b32_e32 v37, 5, v4
	v_add_u32_e32 v38, -8, v37
	v_add_u32_e32 v5, 0x800, v37
	ds_read_b64 v[17:18], v38
	ds_read2_b64 v[5:8], v5 offset0:253 offset1:255
	v_lshl_or_b32 v9, v4, 2, 1
	v_min_u32_e32 v13, 0x1ff, v9
	v_subrev_u32_e32 v9, 24, v37
	ds_read_b64 v[21:22], v9
	s_waitcnt lgkmcnt(1)
	v_div_scale_f64 v[19:20], s[8:9], v[5:6], v[5:6], v[17:18]
	v_add_u32_e32 v9, 0x1800, v37
	v_lshlrev_b32_e32 v39, 3, v13
	ds_read2_b64 v[9:12], v9 offset0:253 offset1:255
	ds_read2st64_b64 v[13:16], v39 offset1:8
	s_waitcnt lgkmcnt(0)
	v_div_scale_f64 v[23:24], s[8:9], v[15:16], v[15:16], v[11:12]
	v_div_scale_f64 v[33:34], s[8:9], v[11:12], v[15:16], v[11:12]
	v_rcp_f64_e32 v[25:26], v[19:20]
	v_rcp_f64_e32 v[27:28], v[23:24]
	v_fma_f64 v[29:30], -v[19:20], v[25:26], 1.0
	v_fma_f64 v[25:26], v[25:26], v[29:30], v[25:26]
	v_div_scale_f64 v[29:30], vcc, v[17:18], v[5:6], v[17:18]
	v_fma_f64 v[31:32], -v[23:24], v[27:28], 1.0
	v_fma_f64 v[27:28], v[27:28], v[31:32], v[27:28]
	v_fma_f64 v[31:32], -v[19:20], v[25:26], 1.0
	v_fma_f64 v[35:36], -v[23:24], v[27:28], 1.0
	v_fma_f64 v[25:26], v[25:26], v[31:32], v[25:26]
	v_fma_f64 v[27:28], v[27:28], v[35:36], v[27:28]
	v_mul_f64 v[31:32], v[29:30], v[25:26]
	v_mul_f64 v[35:36], v[33:34], v[27:28]
	v_fma_f64 v[19:20], -v[19:20], v[31:32], v[29:30]
	v_fma_f64 v[23:24], -v[23:24], v[35:36], v[33:34]
	v_div_fmas_f64 v[19:20], v[19:20], v[25:26], v[31:32]
	s_mov_b64 vcc, s[8:9]
	v_div_fmas_f64 v[23:24], v[23:24], v[27:28], v[35:36]
	v_div_fixup_f64 v[25:26], v[19:20], v[5:6], v[17:18]
	v_add_u32_e32 v5, 0x3800, v37
	ds_read2_b64 v[17:20], v5 offset0:253 offset1:255
	v_div_fixup_f64 v[11:12], v[23:24], v[15:16], v[11:12]
	s_waitcnt lgkmcnt(0)
	v_fma_f64 v[15:16], -v[25:26], v[17:18], v[19:20]
	v_fma_f64 v[9:10], -v[25:26], v[9:10], v[7:8]
	ds_read2st64_b64 v[5:8], v39 offset0:16 offset1:32
	v_mul_f64 v[17:18], v[25:26], -v[21:22]
	s_waitcnt lgkmcnt(0)
	v_mul_f64 v[5:6], v[11:12], -v[5:6]
	v_fma_f64 v[7:8], -v[11:12], v[7:8], v[15:16]
	v_fma_f64 v[9:10], -v[11:12], v[13:14], v[9:10]
	v_add_u32_e32 v11, 0x1f8, v37
	ds_write_b64 v38, v[17:18]
	ds_write_b64 v37, v[7:8] offset:16376
	ds_write2st64_b64 v11, v[9:10], v[5:6] offset0:7 offset1:15
.LBB43_4:
	s_or_b64 exec, exec, s[10:11]
	v_cmp_gt_u32_e64 s[20:21], 64, v0
	s_waitcnt lgkmcnt(0)
	s_barrier
	s_and_saveexec_b64 s[10:11], s[20:21]
	s_cbranch_execz .LBB43_6
; %bb.5:
	v_lshlrev_b32_e32 v37, 6, v4
	v_add_u32_e32 v38, -8, v37
	v_add_u32_e32 v5, 0x800, v37
	ds_read_b64 v[17:18], v38
	ds_read2_b64 v[5:8], v5 offset0:251 offset1:255
	v_lshl_or_b32 v9, v4, 3, 3
	v_min_u32_e32 v13, 0x1ff, v9
	v_subrev_u32_e32 v9, 40, v37
	ds_read_b64 v[21:22], v9
	s_waitcnt lgkmcnt(1)
	v_div_scale_f64 v[19:20], s[8:9], v[5:6], v[5:6], v[17:18]
	v_add_u32_e32 v9, 0x1800, v37
	v_lshlrev_b32_e32 v39, 3, v13
	ds_read2_b64 v[9:12], v9 offset0:251 offset1:255
	ds_read2st64_b64 v[13:16], v39 offset1:8
	s_waitcnt lgkmcnt(0)
	v_div_scale_f64 v[23:24], s[8:9], v[15:16], v[15:16], v[11:12]
	v_div_scale_f64 v[33:34], s[8:9], v[11:12], v[15:16], v[11:12]
	v_rcp_f64_e32 v[25:26], v[19:20]
	v_rcp_f64_e32 v[27:28], v[23:24]
	v_fma_f64 v[29:30], -v[19:20], v[25:26], 1.0
	v_fma_f64 v[25:26], v[25:26], v[29:30], v[25:26]
	v_div_scale_f64 v[29:30], vcc, v[17:18], v[5:6], v[17:18]
	v_fma_f64 v[31:32], -v[23:24], v[27:28], 1.0
	v_fma_f64 v[27:28], v[27:28], v[31:32], v[27:28]
	v_fma_f64 v[31:32], -v[19:20], v[25:26], 1.0
	v_fma_f64 v[35:36], -v[23:24], v[27:28], 1.0
	v_fma_f64 v[25:26], v[25:26], v[31:32], v[25:26]
	v_fma_f64 v[27:28], v[27:28], v[35:36], v[27:28]
	v_mul_f64 v[31:32], v[29:30], v[25:26]
	v_mul_f64 v[35:36], v[33:34], v[27:28]
	v_fma_f64 v[19:20], -v[19:20], v[31:32], v[29:30]
	v_fma_f64 v[23:24], -v[23:24], v[35:36], v[33:34]
	v_div_fmas_f64 v[19:20], v[19:20], v[25:26], v[31:32]
	s_mov_b64 vcc, s[8:9]
	v_div_fmas_f64 v[23:24], v[23:24], v[27:28], v[35:36]
	v_div_fixup_f64 v[25:26], v[19:20], v[5:6], v[17:18]
	v_add_u32_e32 v5, 0x3800, v37
	ds_read2_b64 v[17:20], v5 offset0:251 offset1:255
	v_div_fixup_f64 v[11:12], v[23:24], v[15:16], v[11:12]
	s_waitcnt lgkmcnt(0)
	v_fma_f64 v[15:16], -v[25:26], v[17:18], v[19:20]
	v_fma_f64 v[9:10], -v[25:26], v[9:10], v[7:8]
	ds_read2st64_b64 v[5:8], v39 offset0:16 offset1:32
	v_mul_f64 v[17:18], v[25:26], -v[21:22]
	s_waitcnt lgkmcnt(0)
	v_mul_f64 v[5:6], v[11:12], -v[5:6]
	v_fma_f64 v[7:8], -v[11:12], v[7:8], v[15:16]
	v_fma_f64 v[9:10], -v[11:12], v[13:14], v[9:10]
	v_add_u32_e32 v11, 0x1f8, v37
	ds_write_b64 v38, v[17:18]
	ds_write_b64 v37, v[7:8] offset:16376
	ds_write2st64_b64 v11, v[9:10], v[5:6] offset0:7 offset1:15
.LBB43_6:
	s_or_b64 exec, exec, s[10:11]
	v_cmp_gt_u32_e64 s[8:9], 32, v0
	s_waitcnt lgkmcnt(0)
	s_barrier
	s_and_saveexec_b64 s[12:13], s[8:9]
	s_cbranch_execz .LBB43_8
; %bb.7:
	v_lshlrev_b32_e32 v37, 7, v4
	v_add_u32_e32 v38, -8, v37
	v_add_u32_e32 v5, 0x800, v37
	ds_read_b64 v[17:18], v38
	ds_read2_b64 v[5:8], v5 offset0:247 offset1:255
	v_lshl_or_b32 v9, v4, 4, 7
	v_min_u32_e32 v13, 0x1ff, v9
	v_add_u32_e32 v9, 0xffffffb8, v37
	ds_read_b64 v[21:22], v9
	s_waitcnt lgkmcnt(1)
	v_div_scale_f64 v[19:20], s[10:11], v[5:6], v[5:6], v[17:18]
	v_add_u32_e32 v9, 0x1800, v37
	v_lshlrev_b32_e32 v39, 3, v13
	ds_read2_b64 v[9:12], v9 offset0:247 offset1:255
	ds_read2st64_b64 v[13:16], v39 offset1:8
	s_waitcnt lgkmcnt(0)
	v_div_scale_f64 v[23:24], s[10:11], v[15:16], v[15:16], v[11:12]
	v_div_scale_f64 v[33:34], s[10:11], v[11:12], v[15:16], v[11:12]
	v_rcp_f64_e32 v[25:26], v[19:20]
	v_rcp_f64_e32 v[27:28], v[23:24]
	v_fma_f64 v[29:30], -v[19:20], v[25:26], 1.0
	v_fma_f64 v[25:26], v[25:26], v[29:30], v[25:26]
	v_div_scale_f64 v[29:30], vcc, v[17:18], v[5:6], v[17:18]
	v_fma_f64 v[31:32], -v[23:24], v[27:28], 1.0
	v_fma_f64 v[27:28], v[27:28], v[31:32], v[27:28]
	v_fma_f64 v[31:32], -v[19:20], v[25:26], 1.0
	v_fma_f64 v[35:36], -v[23:24], v[27:28], 1.0
	v_fma_f64 v[25:26], v[25:26], v[31:32], v[25:26]
	v_fma_f64 v[27:28], v[27:28], v[35:36], v[27:28]
	v_mul_f64 v[31:32], v[29:30], v[25:26]
	v_mul_f64 v[35:36], v[33:34], v[27:28]
	v_fma_f64 v[19:20], -v[19:20], v[31:32], v[29:30]
	v_fma_f64 v[23:24], -v[23:24], v[35:36], v[33:34]
	v_div_fmas_f64 v[19:20], v[19:20], v[25:26], v[31:32]
	s_mov_b64 vcc, s[10:11]
	v_div_fmas_f64 v[23:24], v[23:24], v[27:28], v[35:36]
	v_div_fixup_f64 v[25:26], v[19:20], v[5:6], v[17:18]
	v_add_u32_e32 v5, 0x3800, v37
	ds_read2_b64 v[17:20], v5 offset0:247 offset1:255
	v_div_fixup_f64 v[11:12], v[23:24], v[15:16], v[11:12]
	s_waitcnt lgkmcnt(0)
	v_fma_f64 v[15:16], -v[25:26], v[17:18], v[19:20]
	v_fma_f64 v[9:10], -v[25:26], v[9:10], v[7:8]
	ds_read2st64_b64 v[5:8], v39 offset0:16 offset1:32
	v_mul_f64 v[17:18], v[25:26], -v[21:22]
	s_waitcnt lgkmcnt(0)
	v_mul_f64 v[5:6], v[11:12], -v[5:6]
	v_fma_f64 v[7:8], -v[11:12], v[7:8], v[15:16]
	v_fma_f64 v[9:10], -v[11:12], v[13:14], v[9:10]
	v_add_u32_e32 v11, 0x1f8, v37
	ds_write_b64 v38, v[17:18]
	ds_write_b64 v37, v[7:8] offset:16376
	ds_write2st64_b64 v11, v[9:10], v[5:6] offset0:7 offset1:15
.LBB43_8:
	s_or_b64 exec, exec, s[12:13]
	v_cmp_gt_u32_e64 s[10:11], 16, v0
	s_waitcnt lgkmcnt(0)
	s_barrier
	s_and_saveexec_b64 s[14:15], s[10:11]
	s_cbranch_execz .LBB43_10
; %bb.9:
	v_lshlrev_b32_e32 v37, 8, v4
	v_add_u32_e32 v38, -8, v37
	v_add_u32_e32 v5, 0x800, v37
	ds_read_b64 v[17:18], v38
	ds_read2_b64 v[5:8], v5 offset0:239 offset1:255
	v_lshl_or_b32 v9, v4, 5, 15
	v_min_u32_e32 v13, 0x1ff, v9
	v_add_u32_e32 v9, 0xffffff78, v37
	ds_read_b64 v[21:22], v9
	s_waitcnt lgkmcnt(1)
	v_div_scale_f64 v[19:20], s[12:13], v[5:6], v[5:6], v[17:18]
	v_add_u32_e32 v9, 0x1800, v37
	v_lshlrev_b32_e32 v39, 3, v13
	ds_read2_b64 v[9:12], v9 offset0:239 offset1:255
	ds_read2st64_b64 v[13:16], v39 offset1:8
	s_waitcnt lgkmcnt(0)
	v_div_scale_f64 v[23:24], s[12:13], v[15:16], v[15:16], v[11:12]
	v_div_scale_f64 v[33:34], s[12:13], v[11:12], v[15:16], v[11:12]
	v_rcp_f64_e32 v[25:26], v[19:20]
	v_rcp_f64_e32 v[27:28], v[23:24]
	v_fma_f64 v[29:30], -v[19:20], v[25:26], 1.0
	v_fma_f64 v[25:26], v[25:26], v[29:30], v[25:26]
	v_div_scale_f64 v[29:30], vcc, v[17:18], v[5:6], v[17:18]
	v_fma_f64 v[31:32], -v[23:24], v[27:28], 1.0
	v_fma_f64 v[27:28], v[27:28], v[31:32], v[27:28]
	v_fma_f64 v[31:32], -v[19:20], v[25:26], 1.0
	v_fma_f64 v[35:36], -v[23:24], v[27:28], 1.0
	v_fma_f64 v[25:26], v[25:26], v[31:32], v[25:26]
	v_fma_f64 v[27:28], v[27:28], v[35:36], v[27:28]
	v_mul_f64 v[31:32], v[29:30], v[25:26]
	v_mul_f64 v[35:36], v[33:34], v[27:28]
	v_fma_f64 v[19:20], -v[19:20], v[31:32], v[29:30]
	v_fma_f64 v[23:24], -v[23:24], v[35:36], v[33:34]
	v_div_fmas_f64 v[19:20], v[19:20], v[25:26], v[31:32]
	s_mov_b64 vcc, s[12:13]
	v_div_fmas_f64 v[23:24], v[23:24], v[27:28], v[35:36]
	v_div_fixup_f64 v[25:26], v[19:20], v[5:6], v[17:18]
	v_add_u32_e32 v5, 0x3800, v37
	ds_read2_b64 v[17:20], v5 offset0:239 offset1:255
	v_div_fixup_f64 v[11:12], v[23:24], v[15:16], v[11:12]
	s_waitcnt lgkmcnt(0)
	v_fma_f64 v[15:16], -v[25:26], v[17:18], v[19:20]
	v_fma_f64 v[9:10], -v[25:26], v[9:10], v[7:8]
	ds_read2st64_b64 v[5:8], v39 offset0:16 offset1:32
	v_mul_f64 v[17:18], v[25:26], -v[21:22]
	s_waitcnt lgkmcnt(0)
	v_mul_f64 v[5:6], v[11:12], -v[5:6]
	v_fma_f64 v[7:8], -v[11:12], v[7:8], v[15:16]
	v_fma_f64 v[9:10], -v[11:12], v[13:14], v[9:10]
	v_add_u32_e32 v11, 0x1f8, v37
	ds_write_b64 v38, v[17:18]
	ds_write_b64 v37, v[7:8] offset:16376
	ds_write2st64_b64 v11, v[9:10], v[5:6] offset0:7 offset1:15
.LBB43_10:
	;; [unrolled: 61-line block ×3, first 2 shown]
	s_or_b64 exec, exec, s[16:17]
	v_cmp_gt_u32_e64 s[16:17], 4, v0
	s_waitcnt lgkmcnt(0)
	s_barrier
	s_and_saveexec_b64 s[18:19], s[16:17]
	s_cbranch_execz .LBB43_14
; %bb.13:
	v_lshlrev_b32_e32 v37, 10, v4
	v_lshl_or_b32 v5, v4, 7, 63
	v_add_u32_e32 v38, -8, v37
	v_add_u32_e32 v39, 0x1f8, v37
	v_min_u32_e32 v13, 0x1ff, v5
	ds_read_b64 v[17:18], v38
	ds_read2st64_b64 v[5:8], v39 offset0:6 offset1:7
	v_add_u32_e32 v14, 0xfffffdf8, v37
	v_lshlrev_b32_e32 v40, 3, v13
	ds_read2st64_b64 v[9:12], v39 offset0:14 offset1:15
	ds_read_b64 v[21:22], v14
	ds_read2st64_b64 v[13:16], v40 offset1:8
	s_waitcnt lgkmcnt(3)
	v_div_scale_f64 v[19:20], s[14:15], v[5:6], v[5:6], v[17:18]
	s_waitcnt lgkmcnt(0)
	v_div_scale_f64 v[23:24], s[14:15], v[15:16], v[15:16], v[11:12]
	v_div_scale_f64 v[33:34], s[14:15], v[11:12], v[15:16], v[11:12]
	v_rcp_f64_e32 v[25:26], v[19:20]
	v_rcp_f64_e32 v[27:28], v[23:24]
	v_fma_f64 v[29:30], -v[19:20], v[25:26], 1.0
	v_fma_f64 v[31:32], -v[23:24], v[27:28], 1.0
	v_fma_f64 v[25:26], v[25:26], v[29:30], v[25:26]
	v_div_scale_f64 v[29:30], vcc, v[17:18], v[5:6], v[17:18]
	v_fma_f64 v[27:28], v[27:28], v[31:32], v[27:28]
	v_fma_f64 v[31:32], -v[19:20], v[25:26], 1.0
	v_fma_f64 v[35:36], -v[23:24], v[27:28], 1.0
	v_fma_f64 v[25:26], v[25:26], v[31:32], v[25:26]
	v_fma_f64 v[27:28], v[27:28], v[35:36], v[27:28]
	v_mul_f64 v[31:32], v[29:30], v[25:26]
	v_mul_f64 v[35:36], v[33:34], v[27:28]
	v_fma_f64 v[19:20], -v[19:20], v[31:32], v[29:30]
	v_fma_f64 v[23:24], -v[23:24], v[35:36], v[33:34]
	v_div_fmas_f64 v[19:20], v[19:20], v[25:26], v[31:32]
	s_mov_b64 vcc, s[14:15]
	v_div_fmas_f64 v[23:24], v[23:24], v[27:28], v[35:36]
	v_div_fixup_f64 v[25:26], v[19:20], v[5:6], v[17:18]
	ds_read2st64_b64 v[17:20], v39 offset0:30 offset1:31
	v_div_fixup_f64 v[11:12], v[23:24], v[15:16], v[11:12]
	s_waitcnt lgkmcnt(0)
	v_fma_f64 v[15:16], -v[25:26], v[17:18], v[19:20]
	v_fma_f64 v[9:10], -v[25:26], v[9:10], v[7:8]
	ds_read2st64_b64 v[5:8], v40 offset0:16 offset1:32
	v_mul_f64 v[17:18], v[25:26], -v[21:22]
	s_waitcnt lgkmcnt(0)
	v_mul_f64 v[5:6], v[11:12], -v[5:6]
	v_fma_f64 v[7:8], -v[11:12], v[7:8], v[15:16]
	v_fma_f64 v[9:10], -v[11:12], v[13:14], v[9:10]
	ds_write_b64 v38, v[17:18]
	ds_write_b64 v37, v[7:8] offset:16376
	ds_write2st64_b64 v39, v[9:10], v[5:6] offset0:7 offset1:15
.LBB43_14:
	s_or_b64 exec, exec, s[18:19]
	v_cmp_gt_u32_e64 s[18:19], 2, v0
	s_waitcnt lgkmcnt(0)
	s_barrier
	s_and_saveexec_b64 s[22:23], s[18:19]
	s_cbranch_execz .LBB43_16
; %bb.15:
	v_lshlrev_b32_e32 v36, 11, v4
	v_mov_b32_e32 v5, 0x7f
	v_add_u32_e32 v37, -8, v36
	v_add_u32_e32 v38, 0x1f8, v36
	v_lshl_or_b32 v8, v4, 8, v5
	ds_read_b64 v[16:17], v37
	ds_read2st64_b64 v[4:7], v38 offset0:5 offset1:7
	v_min_u32_e32 v12, 0x1ff, v8
	v_add_u32_e32 v8, 0xfffffbf8, v36
	ds_read_b64 v[20:21], v8
	v_lshlrev_b32_e32 v39, 3, v12
	s_waitcnt lgkmcnt(1)
	v_div_scale_f64 v[18:19], s[14:15], v[4:5], v[4:5], v[16:17]
	ds_read2st64_b64 v[8:11], v38 offset0:13 offset1:15
	ds_read2st64_b64 v[12:15], v39 offset1:8
	s_waitcnt lgkmcnt(0)
	v_div_scale_f64 v[22:23], s[14:15], v[14:15], v[14:15], v[10:11]
	v_div_scale_f64 v[32:33], s[14:15], v[10:11], v[14:15], v[10:11]
	v_rcp_f64_e32 v[24:25], v[18:19]
	v_rcp_f64_e32 v[26:27], v[22:23]
	v_fma_f64 v[28:29], -v[18:19], v[24:25], 1.0
	v_fma_f64 v[30:31], -v[22:23], v[26:27], 1.0
	v_fma_f64 v[24:25], v[24:25], v[28:29], v[24:25]
	v_div_scale_f64 v[28:29], vcc, v[16:17], v[4:5], v[16:17]
	v_fma_f64 v[26:27], v[26:27], v[30:31], v[26:27]
	v_fma_f64 v[30:31], -v[18:19], v[24:25], 1.0
	v_fma_f64 v[34:35], -v[22:23], v[26:27], 1.0
	v_fma_f64 v[24:25], v[24:25], v[30:31], v[24:25]
	v_fma_f64 v[26:27], v[26:27], v[34:35], v[26:27]
	v_mul_f64 v[30:31], v[28:29], v[24:25]
	v_mul_f64 v[34:35], v[32:33], v[26:27]
	v_fma_f64 v[18:19], -v[18:19], v[30:31], v[28:29]
	v_fma_f64 v[22:23], -v[22:23], v[34:35], v[32:33]
	v_div_fmas_f64 v[18:19], v[18:19], v[24:25], v[30:31]
	s_mov_b64 vcc, s[14:15]
	v_div_fmas_f64 v[22:23], v[22:23], v[26:27], v[34:35]
	v_div_fixup_f64 v[24:25], v[18:19], v[4:5], v[16:17]
	ds_read2st64_b64 v[16:19], v38 offset0:29 offset1:31
	v_div_fixup_f64 v[10:11], v[22:23], v[14:15], v[10:11]
	s_waitcnt lgkmcnt(0)
	v_fma_f64 v[14:15], -v[24:25], v[16:17], v[18:19]
	v_fma_f64 v[8:9], -v[24:25], v[8:9], v[6:7]
	ds_read2st64_b64 v[4:7], v39 offset0:16 offset1:32
	v_mul_f64 v[16:17], v[24:25], -v[20:21]
	s_waitcnt lgkmcnt(0)
	v_mul_f64 v[4:5], v[10:11], -v[4:5]
	v_fma_f64 v[6:7], -v[10:11], v[6:7], v[14:15]
	v_fma_f64 v[8:9], -v[10:11], v[12:13], v[8:9]
	ds_write_b64 v37, v[16:17]
	ds_write_b64 v36, v[6:7] offset:16376
	ds_write2st64_b64 v38, v[8:9], v[4:5] offset0:7 offset1:15
.LBB43_16:
	s_or_b64 exec, exec, s[22:23]
	v_cmp_ne_u32_e64 s[14:15], 0, v0
	v_cmp_eq_u32_e32 vcc, 0, v0
	s_waitcnt lgkmcnt(0)
	s_barrier
	s_and_saveexec_b64 s[22:23], vcc
	s_cbranch_execz .LBB43_18
; %bb.17:
	s_movk_i32 s6, 0x1f8
	v_add_u32_e64 v22, s6, 0
	ds_read2st64_b64 v[4:7], v22 offset0:15 offset1:19
	ds_read2st64_b64 v[8:11], v22 offset0:7 offset1:11
	s_waitcnt lgkmcnt(0)
	v_mul_f64 v[12:13], v[6:7], v[8:9]
	v_fma_f64 v[16:17], v[4:5], v[10:11], -v[12:13]
	v_div_scale_f64 v[12:13], s[24:25], v[16:17], v[16:17], 1.0
	v_rcp_f64_e32 v[14:15], v[12:13]
	v_fma_f64 v[18:19], -v[12:13], v[14:15], 1.0
	v_fma_f64 v[14:15], v[14:15], v[18:19], v[14:15]
	v_div_scale_f64 v[18:19], vcc, 1.0, v[16:17], 1.0
	v_fma_f64 v[20:21], -v[12:13], v[14:15], 1.0
	v_fma_f64 v[14:15], v[14:15], v[20:21], v[14:15]
	v_mul_f64 v[20:21], v[18:19], v[14:15]
	v_fma_f64 v[12:13], -v[12:13], v[20:21], v[18:19]
	v_div_fmas_f64 v[18:19], v[12:13], v[14:15], v[20:21]
	ds_read2st64_b64 v[12:15], v22 offset0:35 offset1:39
	s_waitcnt lgkmcnt(0)
	v_mul_f64 v[6:7], v[6:7], v[14:15]
	v_mul_f64 v[8:9], v[8:9], v[12:13]
	v_fma_f64 v[4:5], v[4:5], v[12:13], -v[6:7]
	v_fma_f64 v[8:9], v[10:11], v[14:15], -v[8:9]
	v_div_fixup_f64 v[6:7], v[18:19], v[16:17], 1.0
	v_mul_f64 v[4:5], v[6:7], v[4:5]
	v_mul_f64 v[6:7], v[6:7], v[8:9]
	ds_write2st64_b64 v22, v[4:5], v[6:7] offset0:27 offset1:31
.LBB43_18:
	s_or_b64 exec, exec, s[22:23]
	s_load_dwordx2 s[22:23], s[4:5], 0x30
	v_lshlrev_b32_e32 v7, 8, v0
	s_waitcnt lgkmcnt(0)
	s_barrier
	s_and_saveexec_b64 s[24:25], s[18:19]
	s_cbranch_execz .LBB43_22
; %bb.19:
	v_lshlrev_b32_e32 v4, 11, v0
	ds_read_b64 v[4:5], v4 offset:17400
	v_lshlrev_b32_e32 v6, 3, v7
	s_and_saveexec_b64 s[18:19], s[14:15]
	s_cbranch_execz .LBB43_21
; %bb.20:
	v_add_u32_e32 v8, 0x1f8, v6
	ds_read2st64_b64 v[8:11], v8 offset0:1 offset1:23
	s_waitcnt lgkmcnt(0)
	v_fma_f64 v[4:5], -v[8:9], v[10:11], v[4:5]
.LBB43_21:
	s_or_b64 exec, exec, s[18:19]
	v_add_u32_e32 v8, 0x1f8, v6
	ds_read_b64 v[12:13], v6 offset:14328
	ds_read2st64_b64 v[8:11], v8 offset0:9 offset1:17
	s_waitcnt lgkmcnt(0)
	v_fma_f64 v[4:5], -v[10:11], v[12:13], v[4:5]
	v_div_scale_f64 v[10:11], s[18:19], v[8:9], v[8:9], v[4:5]
	v_div_scale_f64 v[16:17], vcc, v[4:5], v[8:9], v[4:5]
	v_rcp_f64_e32 v[12:13], v[10:11]
	v_fma_f64 v[14:15], -v[10:11], v[12:13], 1.0
	v_fma_f64 v[12:13], v[12:13], v[14:15], v[12:13]
	v_fma_f64 v[14:15], -v[10:11], v[12:13], 1.0
	v_fma_f64 v[12:13], v[12:13], v[14:15], v[12:13]
	v_mul_f64 v[14:15], v[16:17], v[12:13]
	v_fma_f64 v[10:11], -v[10:11], v[14:15], v[16:17]
	v_div_fmas_f64 v[10:11], v[10:11], v[12:13], v[14:15]
	v_div_fixup_f64 v[4:5], v[10:11], v[8:9], v[4:5]
	ds_write_b64 v6, v[4:5] offset:13304
.LBB43_22:
	s_or_b64 exec, exec, s[24:25]
	v_or_b32_e32 v6, 0x3000, v2
	v_lshlrev_b32_e32 v8, 7, v0
	s_waitcnt lgkmcnt(0)
	s_barrier
	s_and_saveexec_b64 s[18:19], s[16:17]
	s_cbranch_execz .LBB43_26
; %bb.23:
	v_lshlrev_b32_e32 v4, 10, v0
	ds_read_b64 v[4:5], v4 offset:16888
	v_lshlrev_b32_e32 v9, 3, v8
	s_and_saveexec_b64 s[16:17], s[14:15]
	s_cbranch_execz .LBB43_25
; %bb.24:
	v_add_u32_e32 v10, 0x1f8, v9
	ds_read2st64_b64 v[10:13], v10 offset1:23
	s_waitcnt lgkmcnt(0)
	v_fma_f64 v[4:5], -v[10:11], v[12:13], v[4:5]
.LBB43_25:
	s_or_b64 exec, exec, s[16:17]
	v_add_u32_e32 v10, 0x1f8, v9
	ds_read_b64 v[14:15], v9 offset:13304
	ds_read2st64_b64 v[10:13], v10 offset0:8 offset1:16
	s_waitcnt lgkmcnt(0)
	v_fma_f64 v[4:5], -v[12:13], v[14:15], v[4:5]
	v_div_scale_f64 v[12:13], s[16:17], v[10:11], v[10:11], v[4:5]
	v_div_scale_f64 v[18:19], vcc, v[4:5], v[10:11], v[4:5]
	v_rcp_f64_e32 v[14:15], v[12:13]
	v_fma_f64 v[16:17], -v[12:13], v[14:15], 1.0
	v_fma_f64 v[14:15], v[14:15], v[16:17], v[14:15]
	v_fma_f64 v[16:17], -v[12:13], v[14:15], 1.0
	v_fma_f64 v[14:15], v[14:15], v[16:17], v[14:15]
	v_mul_f64 v[16:17], v[18:19], v[14:15]
	v_fma_f64 v[12:13], -v[12:13], v[16:17], v[18:19]
	v_div_fmas_f64 v[12:13], v[12:13], v[14:15], v[16:17]
	v_div_fixup_f64 v[4:5], v[12:13], v[10:11], v[4:5]
	ds_write_b64 v9, v[4:5] offset:12792
.LBB43_26:
	s_or_b64 exec, exec, s[18:19]
	v_lshlrev_b32_e32 v9, 6, v0
	s_waitcnt lgkmcnt(0)
	s_barrier
	s_and_saveexec_b64 s[16:17], s[12:13]
	s_cbranch_execz .LBB43_30
; %bb.27:
	v_lshlrev_b32_e32 v4, 9, v0
	ds_read_b64 v[4:5], v4 offset:16632
	v_lshlrev_b32_e32 v10, 3, v9
	s_and_saveexec_b64 s[12:13], s[14:15]
	s_cbranch_execz .LBB43_29
; %bb.28:
	ds_read_b64 v[11:12], v10 offset:248
	ds_read_b64 v[13:14], v10 offset:12280
	s_waitcnt lgkmcnt(0)
	v_fma_f64 v[4:5], -v[11:12], v[13:14], v[4:5]
.LBB43_29:
	s_or_b64 exec, exec, s[12:13]
	v_add_u32_e32 v11, 0xf8, v10
	ds_read_b64 v[15:16], v10 offset:12792
	ds_read2st64_b64 v[11:14], v11 offset0:8 offset1:16
	s_waitcnt lgkmcnt(0)
	v_fma_f64 v[4:5], -v[13:14], v[15:16], v[4:5]
	v_div_scale_f64 v[13:14], s[12:13], v[11:12], v[11:12], v[4:5]
	v_div_scale_f64 v[19:20], vcc, v[4:5], v[11:12], v[4:5]
	v_rcp_f64_e32 v[15:16], v[13:14]
	v_fma_f64 v[17:18], -v[13:14], v[15:16], 1.0
	v_fma_f64 v[15:16], v[15:16], v[17:18], v[15:16]
	v_fma_f64 v[17:18], -v[13:14], v[15:16], 1.0
	v_fma_f64 v[15:16], v[15:16], v[17:18], v[15:16]
	v_mul_f64 v[17:18], v[19:20], v[15:16]
	v_fma_f64 v[13:14], -v[13:14], v[17:18], v[19:20]
	v_div_fmas_f64 v[13:14], v[13:14], v[15:16], v[17:18]
	v_div_fixup_f64 v[4:5], v[13:14], v[11:12], v[4:5]
	ds_write_b64 v10, v[4:5] offset:12536
.LBB43_30:
	s_or_b64 exec, exec, s[16:17]
	v_lshlrev_b32_e32 v10, 5, v0
	s_waitcnt lgkmcnt(0)
	s_barrier
	s_and_saveexec_b64 s[12:13], s[10:11]
	s_cbranch_execz .LBB43_34
; %bb.31:
	ds_read_b64 v[4:5], v7 offset:16504
	v_lshlrev_b32_e32 v7, 3, v10
	s_and_saveexec_b64 s[10:11], s[14:15]
	s_cbranch_execz .LBB43_33
; %bb.32:
	ds_read_b64 v[11:12], v7 offset:120
	ds_read_b64 v[13:14], v7 offset:12280
	s_waitcnt lgkmcnt(0)
	v_fma_f64 v[4:5], -v[11:12], v[13:14], v[4:5]
.LBB43_33:
	s_or_b64 exec, exec, s[10:11]
	v_add_u32_e32 v11, 0x78, v7
	ds_read_b64 v[15:16], v7 offset:12536
	ds_read2st64_b64 v[11:14], v11 offset0:8 offset1:16
	s_waitcnt lgkmcnt(0)
	v_fma_f64 v[4:5], -v[13:14], v[15:16], v[4:5]
	v_div_scale_f64 v[13:14], s[10:11], v[11:12], v[11:12], v[4:5]
	v_div_scale_f64 v[19:20], vcc, v[4:5], v[11:12], v[4:5]
	v_rcp_f64_e32 v[15:16], v[13:14]
	v_fma_f64 v[17:18], -v[13:14], v[15:16], 1.0
	v_fma_f64 v[15:16], v[15:16], v[17:18], v[15:16]
	v_fma_f64 v[17:18], -v[13:14], v[15:16], 1.0
	v_fma_f64 v[15:16], v[15:16], v[17:18], v[15:16]
	v_mul_f64 v[17:18], v[19:20], v[15:16]
	v_fma_f64 v[13:14], -v[13:14], v[17:18], v[19:20]
	v_div_fmas_f64 v[13:14], v[13:14], v[15:16], v[17:18]
	v_div_fixup_f64 v[4:5], v[13:14], v[11:12], v[4:5]
	ds_write_b64 v7, v[4:5] offset:12408
.LBB43_34:
	s_or_b64 exec, exec, s[12:13]
	v_lshlrev_b32_e32 v7, 4, v0
	s_waitcnt lgkmcnt(0)
	s_barrier
	s_and_saveexec_b64 s[10:11], s[8:9]
	s_cbranch_execz .LBB43_38
; %bb.35:
	ds_read_b64 v[4:5], v8 offset:16440
	v_lshlrev_b32_e32 v8, 3, v7
	s_and_saveexec_b64 s[8:9], s[14:15]
	s_cbranch_execz .LBB43_37
; %bb.36:
	ds_read_b64 v[11:12], v8 offset:56
	ds_read_b64 v[13:14], v8 offset:12280
	s_waitcnt lgkmcnt(0)
	v_fma_f64 v[4:5], -v[11:12], v[13:14], v[4:5]
.LBB43_37:
	s_or_b64 exec, exec, s[8:9]
	v_add_u32_e32 v11, 56, v8
	ds_read_b64 v[15:16], v8 offset:12408
	ds_read2st64_b64 v[11:14], v11 offset0:8 offset1:16
	s_waitcnt lgkmcnt(0)
	v_fma_f64 v[4:5], -v[13:14], v[15:16], v[4:5]
	v_div_scale_f64 v[13:14], s[8:9], v[11:12], v[11:12], v[4:5]
	v_div_scale_f64 v[19:20], vcc, v[4:5], v[11:12], v[4:5]
	v_rcp_f64_e32 v[15:16], v[13:14]
	v_fma_f64 v[17:18], -v[13:14], v[15:16], 1.0
	v_fma_f64 v[15:16], v[15:16], v[17:18], v[15:16]
	v_fma_f64 v[17:18], -v[13:14], v[15:16], 1.0
	v_fma_f64 v[15:16], v[15:16], v[17:18], v[15:16]
	v_mul_f64 v[17:18], v[19:20], v[15:16]
	v_fma_f64 v[13:14], -v[13:14], v[17:18], v[19:20]
	v_div_fmas_f64 v[13:14], v[13:14], v[15:16], v[17:18]
	v_div_fixup_f64 v[4:5], v[13:14], v[11:12], v[4:5]
	ds_write_b64 v8, v[4:5] offset:12344
.LBB43_38:
	s_or_b64 exec, exec, s[10:11]
	s_waitcnt lgkmcnt(0)
	s_barrier
	s_and_saveexec_b64 s[8:9], s[20:21]
	s_cbranch_execz .LBB43_42
; %bb.39:
	ds_read_b64 v[4:5], v9 offset:16408
	v_lshlrev_b32_e32 v2, 3, v2
	s_and_saveexec_b64 s[10:11], s[14:15]
	s_cbranch_execz .LBB43_41
; %bb.40:
	ds_read_b64 v[8:9], v2 offset:24
	ds_read_b64 v[11:12], v2 offset:12280
	s_waitcnt lgkmcnt(0)
	v_fma_f64 v[4:5], -v[8:9], v[11:12], v[4:5]
.LBB43_41:
	s_or_b64 exec, exec, s[10:11]
	v_add_u32_e32 v11, 24, v2
	ds_read_b64 v[8:9], v2 offset:12344
	ds_read2st64_b64 v[11:14], v11 offset0:8 offset1:16
	s_waitcnt lgkmcnt(0)
	v_fma_f64 v[4:5], -v[13:14], v[8:9], v[4:5]
	v_div_scale_f64 v[8:9], s[10:11], v[11:12], v[11:12], v[4:5]
	v_div_scale_f64 v[17:18], vcc, v[4:5], v[11:12], v[4:5]
	v_rcp_f64_e32 v[13:14], v[8:9]
	v_fma_f64 v[15:16], -v[8:9], v[13:14], 1.0
	v_fma_f64 v[13:14], v[13:14], v[15:16], v[13:14]
	v_fma_f64 v[15:16], -v[8:9], v[13:14], 1.0
	v_fma_f64 v[13:14], v[13:14], v[15:16], v[13:14]
	v_mul_f64 v[15:16], v[17:18], v[13:14]
	v_fma_f64 v[8:9], -v[8:9], v[15:16], v[17:18]
	v_div_fmas_f64 v[8:9], v[8:9], v[13:14], v[15:16]
	v_div_fixup_f64 v[4:5], v[8:9], v[11:12], v[4:5]
	ds_write_b64 v2, v[4:5] offset:12312
.LBB43_42:
	s_or_b64 exec, exec, s[8:9]
	s_waitcnt lgkmcnt(0)
	s_barrier
	s_and_saveexec_b64 s[8:9], s[2:3]
	s_cbranch_execz .LBB43_46
; %bb.43:
	ds_read_b64 v[4:5], v10 offset:16392
	v_lshlrev_b32_e32 v2, 2, v0
	v_lshlrev_b32_e32 v2, 3, v2
	s_and_saveexec_b64 s[2:3], s[14:15]
	s_cbranch_execz .LBB43_45
; %bb.44:
	ds_read_b64 v[8:9], v2 offset:8
	ds_read_b64 v[10:11], v2 offset:12280
	s_waitcnt lgkmcnt(0)
	v_fma_f64 v[4:5], -v[8:9], v[10:11], v[4:5]
.LBB43_45:
	s_or_b64 exec, exec, s[2:3]
	v_add_u32_e32 v8, 8, v2
	ds_read_b64 v[12:13], v2 offset:12312
	ds_read2st64_b64 v[8:11], v8 offset0:8 offset1:16
	s_waitcnt lgkmcnt(0)
	v_fma_f64 v[4:5], -v[10:11], v[12:13], v[4:5]
	v_div_scale_f64 v[10:11], s[2:3], v[8:9], v[8:9], v[4:5]
	v_div_scale_f64 v[16:17], vcc, v[4:5], v[8:9], v[4:5]
	v_rcp_f64_e32 v[12:13], v[10:11]
	v_fma_f64 v[14:15], -v[10:11], v[12:13], 1.0
	v_fma_f64 v[12:13], v[12:13], v[14:15], v[12:13]
	v_fma_f64 v[14:15], -v[10:11], v[12:13], 1.0
	v_fma_f64 v[12:13], v[12:13], v[14:15], v[12:13]
	v_mul_f64 v[14:15], v[16:17], v[12:13]
	v_fma_f64 v[10:11], -v[10:11], v[14:15], v[16:17]
	v_div_fmas_f64 v[10:11], v[10:11], v[12:13], v[14:15]
	v_div_fixup_f64 v[4:5], v[10:11], v[8:9], v[4:5]
	ds_write_b64 v2, v[4:5] offset:12296
.LBB43_46:
	s_or_b64 exec, exec, s[8:9]
	s_waitcnt lgkmcnt(0)
	s_barrier
	s_and_saveexec_b64 s[2:3], s[0:1]
	s_cbranch_execz .LBB43_50
; %bb.47:
	ds_read_b64 v[4:5], v7 offset:16384
	v_lshlrev_b32_e32 v0, 1, v0
	v_lshlrev_b32_e32 v0, 3, v0
	s_and_saveexec_b64 s[0:1], s[14:15]
	s_cbranch_execz .LBB43_49
; %bb.48:
	ds_read_b64 v[7:8], v0
	ds_read_b64 v[9:10], v0 offset:12280
	s_waitcnt lgkmcnt(0)
	v_fma_f64 v[4:5], -v[7:8], v[9:10], v[4:5]
.LBB43_49:
	s_or_b64 exec, exec, s[0:1]
	ds_read2st64_b64 v[7:10], v0 offset0:8 offset1:16
	ds_read_b64 v[11:12], v0 offset:12296
	s_waitcnt lgkmcnt(0)
	v_fma_f64 v[4:5], -v[9:10], v[11:12], v[4:5]
	v_div_scale_f64 v[9:10], s[0:1], v[7:8], v[7:8], v[4:5]
	v_div_scale_f64 v[15:16], vcc, v[4:5], v[7:8], v[4:5]
	v_rcp_f64_e32 v[11:12], v[9:10]
	v_fma_f64 v[13:14], -v[9:10], v[11:12], 1.0
	v_fma_f64 v[11:12], v[11:12], v[13:14], v[11:12]
	v_fma_f64 v[13:14], -v[9:10], v[11:12], 1.0
	v_fma_f64 v[11:12], v[11:12], v[13:14], v[11:12]
	v_mul_f64 v[13:14], v[15:16], v[11:12]
	v_fma_f64 v[9:10], -v[9:10], v[13:14], v[15:16]
	v_div_fmas_f64 v[9:10], v[9:10], v[11:12], v[13:14]
	v_div_fixup_f64 v[4:5], v[9:10], v[7:8], v[4:5]
	ds_write_b64 v0, v[4:5] offset:12288
.LBB43_50:
	s_or_b64 exec, exec, s[2:3]
	s_load_dword s0, s[4:5], 0x8
	s_waitcnt lgkmcnt(0)
	s_barrier
	ds_read2st64_b64 v[4:7], v6 offset1:4
	s_mul_i32 s0, s0, s7
	v_add_u32_e32 v0, s0, v1
	v_mov_b32_e32 v1, 0
	v_lshlrev_b64 v[8:9], 3, v[0:1]
	v_mov_b32_e32 v0, s23
	v_add_co_u32_e32 v8, vcc, s22, v8
	v_addc_co_u32_e32 v9, vcc, v0, v9, vcc
	v_add_u32_e32 v0, s0, v3
	v_lshlrev_b64 v[0:1], 3, v[0:1]
	v_mov_b32_e32 v2, s23
	v_add_co_u32_e32 v0, vcc, s22, v0
	v_addc_co_u32_e32 v1, vcc, v2, v1, vcc
	s_waitcnt lgkmcnt(0)
	global_store_dwordx2 v[8:9], v[4:5], off
	global_store_dwordx2 v[0:1], v[6:7], off
	s_endpgm
	.section	.rodata,"a",@progbits
	.p2align	6, 0x0
	.amdhsa_kernel _ZN9rocsparseL34gtsv_nopivot_cr_pow2_stage2_kernelILj256EdEEviiiPKT0_S3_S3_S3_PS1_
		.amdhsa_group_segment_fixed_size 20480
		.amdhsa_private_segment_fixed_size 0
		.amdhsa_kernarg_size 312
		.amdhsa_user_sgpr_count 6
		.amdhsa_user_sgpr_private_segment_buffer 1
		.amdhsa_user_sgpr_dispatch_ptr 0
		.amdhsa_user_sgpr_queue_ptr 0
		.amdhsa_user_sgpr_kernarg_segment_ptr 1
		.amdhsa_user_sgpr_dispatch_id 0
		.amdhsa_user_sgpr_flat_scratch_init 0
		.amdhsa_user_sgpr_private_segment_size 0
		.amdhsa_uses_dynamic_stack 0
		.amdhsa_system_sgpr_private_segment_wavefront_offset 0
		.amdhsa_system_sgpr_workgroup_id_x 1
		.amdhsa_system_sgpr_workgroup_id_y 1
		.amdhsa_system_sgpr_workgroup_id_z 0
		.amdhsa_system_sgpr_workgroup_info 0
		.amdhsa_system_vgpr_workitem_id 0
		.amdhsa_next_free_vgpr 65
		.amdhsa_next_free_sgpr 98
		.amdhsa_reserve_vcc 1
		.amdhsa_reserve_flat_scratch 0
		.amdhsa_float_round_mode_32 0
		.amdhsa_float_round_mode_16_64 0
		.amdhsa_float_denorm_mode_32 3
		.amdhsa_float_denorm_mode_16_64 3
		.amdhsa_dx10_clamp 1
		.amdhsa_ieee_mode 1
		.amdhsa_fp16_overflow 0
		.amdhsa_exception_fp_ieee_invalid_op 0
		.amdhsa_exception_fp_denorm_src 0
		.amdhsa_exception_fp_ieee_div_zero 0
		.amdhsa_exception_fp_ieee_overflow 0
		.amdhsa_exception_fp_ieee_underflow 0
		.amdhsa_exception_fp_ieee_inexact 0
		.amdhsa_exception_int_div_zero 0
	.end_amdhsa_kernel
	.section	.text._ZN9rocsparseL34gtsv_nopivot_cr_pow2_stage2_kernelILj256EdEEviiiPKT0_S3_S3_S3_PS1_,"axG",@progbits,_ZN9rocsparseL34gtsv_nopivot_cr_pow2_stage2_kernelILj256EdEEviiiPKT0_S3_S3_S3_PS1_,comdat
.Lfunc_end43:
	.size	_ZN9rocsparseL34gtsv_nopivot_cr_pow2_stage2_kernelILj256EdEEviiiPKT0_S3_S3_S3_PS1_, .Lfunc_end43-_ZN9rocsparseL34gtsv_nopivot_cr_pow2_stage2_kernelILj256EdEEviiiPKT0_S3_S3_S3_PS1_
                                        ; -- End function
	.set _ZN9rocsparseL34gtsv_nopivot_cr_pow2_stage2_kernelILj256EdEEviiiPKT0_S3_S3_S3_PS1_.num_vgpr, 43
	.set _ZN9rocsparseL34gtsv_nopivot_cr_pow2_stage2_kernelILj256EdEEviiiPKT0_S3_S3_S3_PS1_.num_agpr, 0
	.set _ZN9rocsparseL34gtsv_nopivot_cr_pow2_stage2_kernelILj256EdEEviiiPKT0_S3_S3_S3_PS1_.numbered_sgpr, 26
	.set _ZN9rocsparseL34gtsv_nopivot_cr_pow2_stage2_kernelILj256EdEEviiiPKT0_S3_S3_S3_PS1_.num_named_barrier, 0
	.set _ZN9rocsparseL34gtsv_nopivot_cr_pow2_stage2_kernelILj256EdEEviiiPKT0_S3_S3_S3_PS1_.private_seg_size, 0
	.set _ZN9rocsparseL34gtsv_nopivot_cr_pow2_stage2_kernelILj256EdEEviiiPKT0_S3_S3_S3_PS1_.uses_vcc, 1
	.set _ZN9rocsparseL34gtsv_nopivot_cr_pow2_stage2_kernelILj256EdEEviiiPKT0_S3_S3_S3_PS1_.uses_flat_scratch, 0
	.set _ZN9rocsparseL34gtsv_nopivot_cr_pow2_stage2_kernelILj256EdEEviiiPKT0_S3_S3_S3_PS1_.has_dyn_sized_stack, 0
	.set _ZN9rocsparseL34gtsv_nopivot_cr_pow2_stage2_kernelILj256EdEEviiiPKT0_S3_S3_S3_PS1_.has_recursion, 0
	.set _ZN9rocsparseL34gtsv_nopivot_cr_pow2_stage2_kernelILj256EdEEviiiPKT0_S3_S3_S3_PS1_.has_indirect_call, 0
	.section	.AMDGPU.csdata,"",@progbits
; Kernel info:
; codeLenInByte = 5516
; TotalNumSgprs: 30
; NumVgprs: 43
; ScratchSize: 0
; MemoryBound: 0
; FloatMode: 240
; IeeeMode: 1
; LDSByteSize: 20480 bytes/workgroup (compile time only)
; SGPRBlocks: 12
; VGPRBlocks: 16
; NumSGPRsForWavesPerEU: 102
; NumVGPRsForWavesPerEU: 65
; Occupancy: 3
; WaveLimiterHint : 0
; COMPUTE_PGM_RSRC2:SCRATCH_EN: 0
; COMPUTE_PGM_RSRC2:USER_SGPR: 6
; COMPUTE_PGM_RSRC2:TRAP_HANDLER: 0
; COMPUTE_PGM_RSRC2:TGID_X_EN: 1
; COMPUTE_PGM_RSRC2:TGID_Y_EN: 1
; COMPUTE_PGM_RSRC2:TGID_Z_EN: 0
; COMPUTE_PGM_RSRC2:TIDIG_COMP_CNT: 0
	.section	.text._ZN9rocsparseL32gtsv_nopivot_pcr_stage1_n_kernelILj256EdEEviiiiPKT0_S3_S3_S3_PS1_S4_S4_S4_,"axG",@progbits,_ZN9rocsparseL32gtsv_nopivot_pcr_stage1_n_kernelILj256EdEEviiiiPKT0_S3_S3_S3_PS1_S4_S4_S4_,comdat
	.globl	_ZN9rocsparseL32gtsv_nopivot_pcr_stage1_n_kernelILj256EdEEviiiiPKT0_S3_S3_S3_PS1_S4_S4_S4_ ; -- Begin function _ZN9rocsparseL32gtsv_nopivot_pcr_stage1_n_kernelILj256EdEEviiiiPKT0_S3_S3_S3_PS1_S4_S4_S4_
	.p2align	8
	.type	_ZN9rocsparseL32gtsv_nopivot_pcr_stage1_n_kernelILj256EdEEviiiiPKT0_S3_S3_S3_PS1_S4_S4_S4_,@function
_ZN9rocsparseL32gtsv_nopivot_pcr_stage1_n_kernelILj256EdEEviiiiPKT0_S3_S3_S3_PS1_S4_S4_S4_: ; @_ZN9rocsparseL32gtsv_nopivot_pcr_stage1_n_kernelILj256EdEEviiiiPKT0_S3_S3_S3_PS1_S4_S4_S4_
; %bb.0:
	s_load_dwordx2 s[0:1], s[4:5], 0x0
	v_lshl_or_b32 v0, s6, 8, v0
	s_waitcnt lgkmcnt(0)
	v_cmp_gt_i32_e32 vcc, s1, v0
	s_and_saveexec_b64 s[2:3], vcc
	s_cbranch_execz .LBB44_2
; %bb.1:
	v_add_u32_e32 v1, s0, v0
	s_add_i32 s3, s1, -1
	s_load_dwordx8 s[8:15], s[4:5], 0x30
	s_load_dwordx8 s[16:23], s[4:5], 0x10
	s_load_dword s2, s[4:5], 0xc
	v_min_i32_e32 v2, s3, v1
	v_subrev_u32_e32 v1, s0, v0
	v_max_i32_e32 v3, 0, v1
	v_ashrrev_i32_e32 v1, 31, v0
	v_lshlrev_b64 v[0:1], 3, v[0:1]
	s_waitcnt lgkmcnt(0)
	v_mov_b32_e32 v5, s17
	v_add_co_u32_e32 v4, vcc, s16, v0
	v_addc_co_u32_e32 v5, vcc, v5, v1, vcc
	global_load_dwordx2 v[5:6], v[4:5], off
	v_mov_b32_e32 v4, 0
	v_lshlrev_b64 v[7:8], 3, v[3:4]
	v_mov_b32_e32 v4, s19
	v_add_co_u32_e32 v3, vcc, s18, v7
	v_addc_co_u32_e32 v4, vcc, v4, v8, vcc
	global_load_dwordx2 v[3:4], v[3:4], off
	s_mov_b32 s3, 0
	s_mul_i32 s2, s2, s7
	s_waitcnt vmcnt(0)
	v_div_scale_f64 v[9:10], s[4:5], v[3:4], v[3:4], v[5:6]
	v_rcp_f64_e32 v[11:12], v[9:10]
	v_fma_f64 v[13:14], -v[9:10], v[11:12], 1.0
	v_fma_f64 v[11:12], v[11:12], v[13:14], v[11:12]
	v_fma_f64 v[13:14], -v[9:10], v[11:12], 1.0
	v_fma_f64 v[11:12], v[11:12], v[13:14], v[11:12]
	v_div_scale_f64 v[13:14], vcc, v[5:6], v[3:4], v[5:6]
	v_mul_f64 v[15:16], v[13:14], v[11:12]
	v_fma_f64 v[9:10], -v[9:10], v[15:16], v[13:14]
	s_nop 1
	v_div_fmas_f64 v[9:10], v[9:10], v[11:12], v[15:16]
	v_div_fixup_f64 v[4:5], v[9:10], v[3:4], v[5:6]
	v_add_co_u32_e32 v9, vcc, s20, v0
	v_mov_b32_e32 v3, s21
	v_addc_co_u32_e32 v10, vcc, v3, v1, vcc
	v_ashrrev_i32_e32 v3, 31, v2
	v_lshlrev_b64 v[2:3], 3, v[2:3]
	v_mov_b32_e32 v6, s19
	v_add_co_u32_e32 v11, vcc, s18, v2
	v_addc_co_u32_e32 v12, vcc, v6, v3, vcc
	global_load_dwordx2 v[9:10], v[9:10], off
	v_mov_b32_e32 v6, s17
	global_load_dwordx2 v[11:12], v[11:12], off
	s_waitcnt vmcnt(0)
	v_div_scale_f64 v[13:14], s[4:5], v[11:12], v[11:12], v[9:10]
	s_lshl_b64 s[4:5], s[2:3], 3
	s_add_u32 s4, s22, s4
	s_addc_u32 s5, s23, s5
	s_mul_i32 s2, s1, s7
	s_lshl_b64 s[0:1], s[2:3], 3
	s_add_u32 s0, s14, s0
	s_addc_u32 s1, s15, s1
	v_rcp_f64_e32 v[15:16], v[13:14]
	v_fma_f64 v[17:18], -v[13:14], v[15:16], 1.0
	v_fma_f64 v[15:16], v[15:16], v[17:18], v[15:16]
	v_fma_f64 v[17:18], -v[13:14], v[15:16], 1.0
	v_fma_f64 v[15:16], v[15:16], v[17:18], v[15:16]
	v_div_scale_f64 v[17:18], vcc, v[9:10], v[11:12], v[9:10]
	v_mul_f64 v[19:20], v[17:18], v[15:16]
	v_fma_f64 v[13:14], -v[13:14], v[19:20], v[17:18]
	s_nop 1
	v_div_fmas_f64 v[13:14], v[13:14], v[15:16], v[19:20]
	v_div_fixup_f64 v[9:10], v[13:14], v[11:12], v[9:10]
	v_add_co_u32_e32 v11, vcc, s16, v7
	v_addc_co_u32_e32 v12, vcc, v6, v8, vcc
	v_add_co_u32_e32 v13, vcc, s20, v2
	v_mov_b32_e32 v6, s21
	v_addc_co_u32_e32 v14, vcc, v6, v3, vcc
	v_add_co_u32_e32 v15, vcc, s18, v0
	v_mov_b32_e32 v6, s19
	;; [unrolled: 3-line block ×3, first 2 shown]
	v_addc_co_u32_e32 v18, vcc, v6, v8, vcc
	global_load_dwordx2 v[15:16], v[15:16], off
	v_mov_b32_e32 v6, s17
	global_load_dwordx2 v[17:18], v[17:18], off
	s_waitcnt vmcnt(0)
	v_fma_f64 v[15:16], -v[4:5], v[17:18], v[15:16]
	v_add_co_u32_e32 v17, vcc, s16, v2
	v_addc_co_u32_e32 v18, vcc, v6, v3, vcc
	global_load_dwordx2 v[17:18], v[17:18], off
	v_mov_b32_e32 v6, s11
	global_load_dwordx2 v[11:12], v[11:12], off
	s_waitcnt vmcnt(1)
	v_fma_f64 v[15:16], -v[9:10], v[17:18], v[15:16]
	global_load_dwordx2 v[13:14], v[13:14], off
	s_waitcnt vmcnt(1)
	v_mul_f64 v[11:12], v[4:5], -v[11:12]
	v_add_co_u32_e32 v17, vcc, s10, v0
	v_addc_co_u32_e32 v18, vcc, v6, v1, vcc
	v_mov_b32_e32 v6, s9
	global_store_dwordx2 v[17:18], v[15:16], off
	v_add_co_u32_e32 v15, vcc, s8, v0
	v_addc_co_u32_e32 v16, vcc, v6, v1, vcc
	global_store_dwordx2 v[15:16], v[11:12], off
	v_mov_b32_e32 v6, s13
	s_waitcnt vmcnt(2)
	v_mul_f64 v[11:12], v[9:10], -v[13:14]
	v_add_co_u32_e32 v13, vcc, s12, v0
	v_addc_co_u32_e32 v14, vcc, v6, v1, vcc
	v_add_co_u32_e32 v2, vcc, s4, v2
	v_mov_b32_e32 v6, s5
	v_addc_co_u32_e32 v3, vcc, v6, v3, vcc
	v_add_co_u32_e32 v6, vcc, s4, v7
	v_mov_b32_e32 v7, s5
	v_addc_co_u32_e32 v7, vcc, v7, v8, vcc
	global_store_dwordx2 v[13:14], v[11:12], off
	v_add_co_u32_e32 v11, vcc, s4, v0
	v_mov_b32_e32 v8, s5
	v_addc_co_u32_e32 v12, vcc, v8, v1, vcc
	global_load_dwordx2 v[2:3], v[2:3], off
	v_add_co_u32_e32 v0, vcc, s0, v0
	global_load_dwordx2 v[6:7], v[6:7], off
	s_nop 0
	global_load_dwordx2 v[11:12], v[11:12], off
	s_waitcnt vmcnt(0)
	v_fma_f64 v[4:5], -v[4:5], v[6:7], v[11:12]
	v_fma_f64 v[2:3], -v[9:10], v[2:3], v[4:5]
	v_mov_b32_e32 v4, s1
	v_addc_co_u32_e32 v1, vcc, v4, v1, vcc
	global_store_dwordx2 v[0:1], v[2:3], off
.LBB44_2:
	s_endpgm
	.section	.rodata,"a",@progbits
	.p2align	6, 0x0
	.amdhsa_kernel _ZN9rocsparseL32gtsv_nopivot_pcr_stage1_n_kernelILj256EdEEviiiiPKT0_S3_S3_S3_PS1_S4_S4_S4_
		.amdhsa_group_segment_fixed_size 0
		.amdhsa_private_segment_fixed_size 0
		.amdhsa_kernarg_size 80
		.amdhsa_user_sgpr_count 6
		.amdhsa_user_sgpr_private_segment_buffer 1
		.amdhsa_user_sgpr_dispatch_ptr 0
		.amdhsa_user_sgpr_queue_ptr 0
		.amdhsa_user_sgpr_kernarg_segment_ptr 1
		.amdhsa_user_sgpr_dispatch_id 0
		.amdhsa_user_sgpr_flat_scratch_init 0
		.amdhsa_user_sgpr_private_segment_size 0
		.amdhsa_uses_dynamic_stack 0
		.amdhsa_system_sgpr_private_segment_wavefront_offset 0
		.amdhsa_system_sgpr_workgroup_id_x 1
		.amdhsa_system_sgpr_workgroup_id_y 1
		.amdhsa_system_sgpr_workgroup_id_z 0
		.amdhsa_system_sgpr_workgroup_info 0
		.amdhsa_system_vgpr_workitem_id 0
		.amdhsa_next_free_vgpr 21
		.amdhsa_next_free_sgpr 24
		.amdhsa_reserve_vcc 1
		.amdhsa_reserve_flat_scratch 0
		.amdhsa_float_round_mode_32 0
		.amdhsa_float_round_mode_16_64 0
		.amdhsa_float_denorm_mode_32 3
		.amdhsa_float_denorm_mode_16_64 3
		.amdhsa_dx10_clamp 1
		.amdhsa_ieee_mode 1
		.amdhsa_fp16_overflow 0
		.amdhsa_exception_fp_ieee_invalid_op 0
		.amdhsa_exception_fp_denorm_src 0
		.amdhsa_exception_fp_ieee_div_zero 0
		.amdhsa_exception_fp_ieee_overflow 0
		.amdhsa_exception_fp_ieee_underflow 0
		.amdhsa_exception_fp_ieee_inexact 0
		.amdhsa_exception_int_div_zero 0
	.end_amdhsa_kernel
	.section	.text._ZN9rocsparseL32gtsv_nopivot_pcr_stage1_n_kernelILj256EdEEviiiiPKT0_S3_S3_S3_PS1_S4_S4_S4_,"axG",@progbits,_ZN9rocsparseL32gtsv_nopivot_pcr_stage1_n_kernelILj256EdEEviiiiPKT0_S3_S3_S3_PS1_S4_S4_S4_,comdat
.Lfunc_end44:
	.size	_ZN9rocsparseL32gtsv_nopivot_pcr_stage1_n_kernelILj256EdEEviiiiPKT0_S3_S3_S3_PS1_S4_S4_S4_, .Lfunc_end44-_ZN9rocsparseL32gtsv_nopivot_pcr_stage1_n_kernelILj256EdEEviiiiPKT0_S3_S3_S3_PS1_S4_S4_S4_
                                        ; -- End function
	.set _ZN9rocsparseL32gtsv_nopivot_pcr_stage1_n_kernelILj256EdEEviiiiPKT0_S3_S3_S3_PS1_S4_S4_S4_.num_vgpr, 21
	.set _ZN9rocsparseL32gtsv_nopivot_pcr_stage1_n_kernelILj256EdEEviiiiPKT0_S3_S3_S3_PS1_S4_S4_S4_.num_agpr, 0
	.set _ZN9rocsparseL32gtsv_nopivot_pcr_stage1_n_kernelILj256EdEEviiiiPKT0_S3_S3_S3_PS1_S4_S4_S4_.numbered_sgpr, 24
	.set _ZN9rocsparseL32gtsv_nopivot_pcr_stage1_n_kernelILj256EdEEviiiiPKT0_S3_S3_S3_PS1_S4_S4_S4_.num_named_barrier, 0
	.set _ZN9rocsparseL32gtsv_nopivot_pcr_stage1_n_kernelILj256EdEEviiiiPKT0_S3_S3_S3_PS1_S4_S4_S4_.private_seg_size, 0
	.set _ZN9rocsparseL32gtsv_nopivot_pcr_stage1_n_kernelILj256EdEEviiiiPKT0_S3_S3_S3_PS1_S4_S4_S4_.uses_vcc, 1
	.set _ZN9rocsparseL32gtsv_nopivot_pcr_stage1_n_kernelILj256EdEEviiiiPKT0_S3_S3_S3_PS1_S4_S4_S4_.uses_flat_scratch, 0
	.set _ZN9rocsparseL32gtsv_nopivot_pcr_stage1_n_kernelILj256EdEEviiiiPKT0_S3_S3_S3_PS1_S4_S4_S4_.has_dyn_sized_stack, 0
	.set _ZN9rocsparseL32gtsv_nopivot_pcr_stage1_n_kernelILj256EdEEviiiiPKT0_S3_S3_S3_PS1_S4_S4_S4_.has_recursion, 0
	.set _ZN9rocsparseL32gtsv_nopivot_pcr_stage1_n_kernelILj256EdEEviiiiPKT0_S3_S3_S3_PS1_S4_S4_S4_.has_indirect_call, 0
	.section	.AMDGPU.csdata,"",@progbits
; Kernel info:
; codeLenInByte = 732
; TotalNumSgprs: 28
; NumVgprs: 21
; ScratchSize: 0
; MemoryBound: 0
; FloatMode: 240
; IeeeMode: 1
; LDSByteSize: 0 bytes/workgroup (compile time only)
; SGPRBlocks: 3
; VGPRBlocks: 5
; NumSGPRsForWavesPerEU: 28
; NumVGPRsForWavesPerEU: 21
; Occupancy: 10
; WaveLimiterHint : 0
; COMPUTE_PGM_RSRC2:SCRATCH_EN: 0
; COMPUTE_PGM_RSRC2:USER_SGPR: 6
; COMPUTE_PGM_RSRC2:TRAP_HANDLER: 0
; COMPUTE_PGM_RSRC2:TGID_X_EN: 1
; COMPUTE_PGM_RSRC2:TGID_Y_EN: 1
; COMPUTE_PGM_RSRC2:TGID_Z_EN: 0
; COMPUTE_PGM_RSRC2:TIDIG_COMP_CNT: 0
	.section	.text._ZN9rocsparseL30gtsv_nopivot_pcr_stage2_kernelILj512EdEEviiiPKT0_S3_S3_S3_PS1_,"axG",@progbits,_ZN9rocsparseL30gtsv_nopivot_pcr_stage2_kernelILj512EdEEviiiPKT0_S3_S3_S3_PS1_,comdat
	.globl	_ZN9rocsparseL30gtsv_nopivot_pcr_stage2_kernelILj512EdEEviiiPKT0_S3_S3_S3_PS1_ ; -- Begin function _ZN9rocsparseL30gtsv_nopivot_pcr_stage2_kernelILj512EdEEviiiPKT0_S3_S3_S3_PS1_
	.p2align	8
	.type	_ZN9rocsparseL30gtsv_nopivot_pcr_stage2_kernelILj512EdEEviiiPKT0_S3_S3_S3_PS1_,@function
_ZN9rocsparseL30gtsv_nopivot_pcr_stage2_kernelILj512EdEEviiiPKT0_S3_S3_S3_PS1_: ; @_ZN9rocsparseL30gtsv_nopivot_pcr_stage2_kernelILj512EdEEviiiPKT0_S3_S3_S3_PS1_
; %bb.0:
	s_load_dword s2, s[4:5], 0x38
	s_load_dword s3, s[4:5], 0x0
	s_load_dwordx8 s[8:15], s[4:5], 0x10
	s_waitcnt lgkmcnt(0)
	v_mul_lo_u32 v1, s2, v0
	s_add_i32 s16, s3, s6
	s_sub_i32 s17, s16, s2
	v_mov_b32_e32 v5, s9
	v_add_u32_e32 v1, s6, v1
	v_ashrrev_i32_e32 v2, 31, v1
	v_cmp_gt_i32_e64 s[0:1], s3, v1
	v_cndmask_b32_e64 v3, 0, v2, s[0:1]
	v_mov_b32_e32 v2, s17
	v_cndmask_b32_e64 v2, v2, v1, s[0:1]
	v_lshlrev_b64 v[2:3], 3, v[2:3]
	v_mov_b32_e32 v7, s11
	v_add_co_u32_e32 v4, vcc, s8, v2
	v_addc_co_u32_e32 v5, vcc, v5, v3, vcc
	v_add_co_u32_e32 v6, vcc, s10, v2
	v_addc_co_u32_e32 v7, vcc, v7, v3, vcc
	s_mul_i32 s3, s3, s7
	v_mov_b32_e32 v8, s13
	v_add_co_u32_e32 v2, vcc, s12, v2
	s_add_i32 s16, s16, s3
	v_addc_co_u32_e32 v3, vcc, v8, v3, vcc
	s_sub_i32 s2, s16, s2
	global_load_dwordx2 v[8:9], v[2:3], off
	v_add_u32_e32 v2, s3, v1
	v_mov_b32_e32 v3, s2
	v_cndmask_b32_e64 v2, v3, v2, s[0:1]
	v_mov_b32_e32 v3, 0
	v_lshlrev_b64 v[2:3], 3, v[2:3]
	v_mov_b32_e32 v10, s15
	v_add_co_u32_e32 v2, vcc, s14, v2
	global_load_dwordx2 v[4:5], v[4:5], off
	v_addc_co_u32_e32 v3, vcc, v10, v3, vcc
	global_load_dwordx2 v[6:7], v[6:7], off
	s_nop 0
	global_load_dwordx2 v[10:11], v[2:3], off
	v_lshlrev_b32_e32 v2, 3, v0
	v_sub_u32_e64 v3, v0, 1 clamp
	v_lshlrev_b32_e32 v33, 3, v3
	s_waitcnt vmcnt(1)
	ds_write2st64_b64 v2, v[4:5], v[6:7] offset1:8
	s_waitcnt vmcnt(0)
	ds_write2st64_b64 v2, v[8:9], v[10:11] offset0:16 offset1:32
	s_waitcnt lgkmcnt(0)
	s_barrier
	ds_read2st64_b64 v[3:6], v2 offset1:8
	ds_read2st64_b64 v[7:10], v33 offset1:8
	v_min_u32_e32 v11, 0x1fe, v0
	v_lshlrev_b32_e32 v11, 3, v11
	v_add_u32_e32 v34, 8, v11
	ds_read2st64_b64 v[11:14], v2 offset0:16 offset1:32
	ds_read2st64_b64 v[15:18], v34 offset1:8
	s_waitcnt lgkmcnt(2)
	v_div_scale_f64 v[19:20], s[2:3], v[9:10], v[9:10], v[3:4]
	s_waitcnt lgkmcnt(0)
	v_div_scale_f64 v[21:22], s[2:3], v[17:18], v[17:18], v[11:12]
	v_rcp_f64_e32 v[23:24], v[19:20]
	v_rcp_f64_e32 v[25:26], v[21:22]
	v_fma_f64 v[27:28], -v[19:20], v[23:24], 1.0
	v_fma_f64 v[29:30], -v[21:22], v[25:26], 1.0
	v_fma_f64 v[23:24], v[23:24], v[27:28], v[23:24]
	v_fma_f64 v[25:26], v[25:26], v[29:30], v[25:26]
	v_div_scale_f64 v[29:30], vcc, v[3:4], v[9:10], v[3:4]
	v_fma_f64 v[27:28], -v[19:20], v[23:24], 1.0
	v_fma_f64 v[31:32], -v[21:22], v[25:26], 1.0
	v_fma_f64 v[23:24], v[23:24], v[27:28], v[23:24]
	v_div_scale_f64 v[27:28], s[2:3], v[11:12], v[17:18], v[11:12]
	v_fma_f64 v[25:26], v[25:26], v[31:32], v[25:26]
	v_mul_f64 v[31:32], v[29:30], v[23:24]
	v_fma_f64 v[19:20], -v[19:20], v[31:32], v[29:30]
	v_mul_f64 v[29:30], v[27:28], v[25:26]
	v_div_fmas_f64 v[19:20], v[19:20], v[23:24], v[31:32]
	v_fma_f64 v[21:22], -v[21:22], v[29:30], v[27:28]
	s_mov_b64 vcc, s[2:3]
	v_div_fmas_f64 v[23:24], v[21:22], v[25:26], v[29:30]
	v_div_fixup_f64 v[9:10], v[19:20], v[9:10], v[3:4]
	ds_read2st64_b64 v[19:22], v33 offset0:16 offset1:32
	s_waitcnt lgkmcnt(0)
	v_fma_f64 v[13:14], -v[9:10], v[21:22], v[13:14]
	v_div_fixup_f64 v[11:12], v[23:24], v[17:18], v[11:12]
	v_fma_f64 v[17:18], -v[9:10], v[19:20], v[5:6]
	ds_read2st64_b64 v[3:6], v34 offset0:16 offset1:32
	v_mul_f64 v[7:8], v[9:10], -v[7:8]
	s_waitcnt lgkmcnt(0)
	s_barrier
	v_mul_f64 v[3:4], v[11:12], -v[3:4]
	v_fma_f64 v[9:10], -v[11:12], v[15:16], v[17:18]
	v_fma_f64 v[5:6], -v[11:12], v[5:6], v[13:14]
	v_sub_u32_e64 v11, v0, 2 clamp
	v_lshlrev_b32_e32 v33, 3, v11
	ds_write2st64_b64 v2, v[7:8], v[9:10] offset1:8
	ds_write2st64_b64 v2, v[3:4], v[5:6] offset0:16 offset1:32
	s_waitcnt lgkmcnt(0)
	s_barrier
	ds_read2st64_b64 v[3:6], v2 offset1:8
	ds_read2st64_b64 v[7:10], v33 offset1:8
	v_min_u32_e32 v11, 0x1fd, v0
	v_lshlrev_b32_e32 v11, 3, v11
	v_add_u32_e32 v34, 16, v11
	ds_read2st64_b64 v[11:14], v2 offset0:16 offset1:32
	ds_read2st64_b64 v[15:18], v34 offset1:8
	s_waitcnt lgkmcnt(2)
	v_div_scale_f64 v[19:20], s[2:3], v[9:10], v[9:10], v[3:4]
	s_waitcnt lgkmcnt(0)
	v_div_scale_f64 v[21:22], s[2:3], v[17:18], v[17:18], v[11:12]
	v_rcp_f64_e32 v[23:24], v[19:20]
	v_rcp_f64_e32 v[25:26], v[21:22]
	v_fma_f64 v[27:28], -v[19:20], v[23:24], 1.0
	v_fma_f64 v[29:30], -v[21:22], v[25:26], 1.0
	v_fma_f64 v[23:24], v[23:24], v[27:28], v[23:24]
	v_fma_f64 v[25:26], v[25:26], v[29:30], v[25:26]
	v_div_scale_f64 v[29:30], vcc, v[3:4], v[9:10], v[3:4]
	v_fma_f64 v[27:28], -v[19:20], v[23:24], 1.0
	v_fma_f64 v[31:32], -v[21:22], v[25:26], 1.0
	v_fma_f64 v[23:24], v[23:24], v[27:28], v[23:24]
	v_div_scale_f64 v[27:28], s[2:3], v[11:12], v[17:18], v[11:12]
	v_fma_f64 v[25:26], v[25:26], v[31:32], v[25:26]
	v_mul_f64 v[31:32], v[29:30], v[23:24]
	v_fma_f64 v[19:20], -v[19:20], v[31:32], v[29:30]
	v_mul_f64 v[29:30], v[27:28], v[25:26]
	v_div_fmas_f64 v[19:20], v[19:20], v[23:24], v[31:32]
	v_fma_f64 v[21:22], -v[21:22], v[29:30], v[27:28]
	s_mov_b64 vcc, s[2:3]
	v_div_fmas_f64 v[23:24], v[21:22], v[25:26], v[29:30]
	v_div_fixup_f64 v[9:10], v[19:20], v[9:10], v[3:4]
	ds_read2st64_b64 v[19:22], v33 offset0:16 offset1:32
	s_waitcnt lgkmcnt(0)
	v_fma_f64 v[13:14], -v[9:10], v[21:22], v[13:14]
	v_div_fixup_f64 v[11:12], v[23:24], v[17:18], v[11:12]
	v_fma_f64 v[17:18], -v[9:10], v[19:20], v[5:6]
	ds_read2st64_b64 v[3:6], v34 offset0:16 offset1:32
	v_mul_f64 v[7:8], v[9:10], -v[7:8]
	s_waitcnt lgkmcnt(0)
	s_barrier
	v_mul_f64 v[3:4], v[11:12], -v[3:4]
	v_fma_f64 v[9:10], -v[11:12], v[15:16], v[17:18]
	v_fma_f64 v[5:6], -v[11:12], v[5:6], v[13:14]
	v_sub_u32_e64 v11, v0, 4 clamp
	v_lshlrev_b32_e32 v33, 3, v11
	ds_write2st64_b64 v2, v[7:8], v[9:10] offset1:8
	;; [unrolled: 49-line block ×6, first 2 shown]
	ds_write2st64_b64 v2, v[3:4], v[5:6] offset0:16 offset1:32
	s_waitcnt lgkmcnt(0)
	s_barrier
	ds_read2st64_b64 v[3:6], v2 offset1:8
	ds_read2st64_b64 v[7:10], v33 offset1:8
	v_min_u32_e32 v11, 0x1bf, v0
	v_lshlrev_b32_e32 v34, 3, v11
	ds_read2st64_b64 v[11:14], v2 offset0:16 offset1:32
	ds_read2st64_b64 v[15:18], v34 offset0:1 offset1:9
	s_waitcnt lgkmcnt(2)
	v_div_scale_f64 v[19:20], s[2:3], v[9:10], v[9:10], v[3:4]
	s_waitcnt lgkmcnt(0)
	v_div_scale_f64 v[21:22], s[2:3], v[17:18], v[17:18], v[11:12]
	v_rcp_f64_e32 v[23:24], v[19:20]
	v_rcp_f64_e32 v[25:26], v[21:22]
	v_fma_f64 v[27:28], -v[19:20], v[23:24], 1.0
	v_fma_f64 v[29:30], -v[21:22], v[25:26], 1.0
	v_fma_f64 v[23:24], v[23:24], v[27:28], v[23:24]
	v_fma_f64 v[25:26], v[25:26], v[29:30], v[25:26]
	v_div_scale_f64 v[29:30], vcc, v[3:4], v[9:10], v[3:4]
	v_fma_f64 v[27:28], -v[19:20], v[23:24], 1.0
	v_fma_f64 v[31:32], -v[21:22], v[25:26], 1.0
	v_fma_f64 v[23:24], v[23:24], v[27:28], v[23:24]
	v_div_scale_f64 v[27:28], s[2:3], v[11:12], v[17:18], v[11:12]
	v_fma_f64 v[25:26], v[25:26], v[31:32], v[25:26]
	v_mul_f64 v[31:32], v[29:30], v[23:24]
	v_fma_f64 v[19:20], -v[19:20], v[31:32], v[29:30]
	v_mul_f64 v[29:30], v[27:28], v[25:26]
	v_div_fmas_f64 v[19:20], v[19:20], v[23:24], v[31:32]
	v_fma_f64 v[21:22], -v[21:22], v[29:30], v[27:28]
	s_mov_b64 vcc, s[2:3]
	s_movk_i32 s2, 0x80
	v_div_fmas_f64 v[23:24], v[21:22], v[25:26], v[29:30]
	v_div_fixup_f64 v[9:10], v[19:20], v[9:10], v[3:4]
	ds_read2st64_b64 v[19:22], v33 offset0:16 offset1:32
	s_waitcnt lgkmcnt(0)
	v_fma_f64 v[13:14], -v[9:10], v[21:22], v[13:14]
	v_div_fixup_f64 v[11:12], v[23:24], v[17:18], v[11:12]
	v_fma_f64 v[17:18], -v[9:10], v[19:20], v[5:6]
	ds_read2st64_b64 v[3:6], v34 offset0:17 offset1:33
	v_mul_f64 v[7:8], v[9:10], -v[7:8]
	s_waitcnt lgkmcnt(0)
	s_barrier
	v_mul_f64 v[3:4], v[11:12], -v[3:4]
	v_fma_f64 v[9:10], -v[11:12], v[15:16], v[17:18]
	v_fma_f64 v[5:6], -v[11:12], v[5:6], v[13:14]
	v_sub_u32_e64 v11, v0, s2 clamp
	v_lshlrev_b32_e32 v33, 3, v11
	ds_write2st64_b64 v2, v[7:8], v[9:10] offset1:8
	ds_write2st64_b64 v2, v[3:4], v[5:6] offset0:16 offset1:32
	s_waitcnt lgkmcnt(0)
	s_barrier
	ds_read2st64_b64 v[3:6], v2 offset1:8
	ds_read2st64_b64 v[7:10], v33 offset1:8
	v_min_u32_e32 v11, 0x17f, v0
	v_lshlrev_b32_e32 v34, 3, v11
	ds_read2st64_b64 v[11:14], v2 offset0:16 offset1:32
	ds_read2st64_b64 v[15:18], v34 offset0:2 offset1:10
	s_waitcnt lgkmcnt(2)
	v_div_scale_f64 v[19:20], s[2:3], v[9:10], v[9:10], v[3:4]
	s_waitcnt lgkmcnt(0)
	v_div_scale_f64 v[21:22], s[2:3], v[17:18], v[17:18], v[11:12]
	v_rcp_f64_e32 v[23:24], v[19:20]
	v_rcp_f64_e32 v[25:26], v[21:22]
	v_fma_f64 v[27:28], -v[19:20], v[23:24], 1.0
	v_fma_f64 v[29:30], -v[21:22], v[25:26], 1.0
	v_fma_f64 v[23:24], v[23:24], v[27:28], v[23:24]
	v_fma_f64 v[25:26], v[25:26], v[29:30], v[25:26]
	v_div_scale_f64 v[29:30], vcc, v[3:4], v[9:10], v[3:4]
	v_fma_f64 v[27:28], -v[19:20], v[23:24], 1.0
	v_fma_f64 v[31:32], -v[21:22], v[25:26], 1.0
	v_fma_f64 v[23:24], v[23:24], v[27:28], v[23:24]
	v_div_scale_f64 v[27:28], s[2:3], v[11:12], v[17:18], v[11:12]
	v_fma_f64 v[25:26], v[25:26], v[31:32], v[25:26]
	v_mul_f64 v[31:32], v[29:30], v[23:24]
	v_fma_f64 v[19:20], -v[19:20], v[31:32], v[29:30]
	v_mul_f64 v[29:30], v[27:28], v[25:26]
	v_div_fmas_f64 v[19:20], v[19:20], v[23:24], v[31:32]
	v_fma_f64 v[21:22], -v[21:22], v[29:30], v[27:28]
	s_mov_b64 vcc, s[2:3]
	s_movk_i32 s2, 0x100
	v_div_fmas_f64 v[23:24], v[21:22], v[25:26], v[29:30]
	v_cmp_gt_u32_e32 vcc, s2, v0
	v_div_fixup_f64 v[9:10], v[19:20], v[9:10], v[3:4]
	ds_read2st64_b64 v[19:22], v33 offset0:16 offset1:32
	s_waitcnt lgkmcnt(0)
	v_fma_f64 v[13:14], -v[9:10], v[21:22], v[13:14]
	v_div_fixup_f64 v[11:12], v[23:24], v[17:18], v[11:12]
	v_fma_f64 v[17:18], -v[9:10], v[19:20], v[5:6]
	ds_read2st64_b64 v[3:6], v34 offset0:18 offset1:34
	v_mul_f64 v[7:8], v[9:10], -v[7:8]
	s_waitcnt lgkmcnt(0)
	s_barrier
	v_mul_f64 v[3:4], v[11:12], -v[3:4]
	v_fma_f64 v[9:10], -v[11:12], v[15:16], v[17:18]
	v_fma_f64 v[5:6], -v[11:12], v[5:6], v[13:14]
	ds_write2st64_b64 v2, v[7:8], v[9:10] offset1:8
	ds_write2st64_b64 v2, v[3:4], v[5:6] offset0:16 offset1:32
	s_waitcnt lgkmcnt(0)
	s_barrier
	s_and_saveexec_b64 s[2:3], vcc
	s_cbranch_execz .LBB45_2
; %bb.1:
	v_or_b32_e32 v0, 0x2000, v2
	ds_read_b64 v[11:12], v0
	ds_read_b64 v[13:14], v2 offset:2048
	v_or_b32_e32 v0, 0x1000, v2
	ds_read2st64_b64 v[3:6], v0 offset1:4
	v_or_b32_e32 v0, 0x4000, v2
	s_waitcnt lgkmcnt(1)
	v_mul_f64 v[7:8], v[11:12], v[13:14]
	s_waitcnt lgkmcnt(0)
	v_fma_f64 v[15:16], v[5:6], v[3:4], -v[7:8]
	v_div_scale_f64 v[7:8], s[8:9], v[15:16], v[15:16], 1.0
	v_rcp_f64_e32 v[9:10], v[7:8]
	v_fma_f64 v[17:18], -v[7:8], v[9:10], 1.0
	v_fma_f64 v[9:10], v[9:10], v[17:18], v[9:10]
	v_div_scale_f64 v[17:18], vcc, 1.0, v[15:16], 1.0
	v_fma_f64 v[19:20], -v[7:8], v[9:10], 1.0
	v_fma_f64 v[9:10], v[9:10], v[19:20], v[9:10]
	v_mul_f64 v[19:20], v[17:18], v[9:10]
	v_fma_f64 v[7:8], -v[7:8], v[19:20], v[17:18]
	v_div_fmas_f64 v[17:18], v[7:8], v[9:10], v[19:20]
	ds_read2st64_b64 v[7:10], v0 offset1:4
	s_waitcnt lgkmcnt(0)
	v_mul_f64 v[11:12], v[11:12], v[9:10]
	v_mul_f64 v[13:14], v[13:14], v[7:8]
	v_fma_f64 v[5:6], v[5:6], v[7:8], -v[11:12]
	v_fma_f64 v[3:4], v[3:4], v[9:10], -v[13:14]
	v_div_fixup_f64 v[7:8], v[17:18], v[15:16], 1.0
	v_mul_f64 v[5:6], v[7:8], v[5:6]
	v_mul_f64 v[3:4], v[7:8], v[3:4]
	ds_write2st64_b64 v2, v[5:6], v[3:4] offset0:24 offset1:28
.LBB45_2:
	s_or_b64 exec, exec, s[2:3]
	s_waitcnt lgkmcnt(0)
	s_barrier
	s_and_saveexec_b64 s[2:3], s[0:1]
	s_cbranch_execz .LBB45_4
; %bb.3:
	s_load_dword s2, s[4:5], 0x8
	s_load_dwordx2 s[0:1], s[4:5], 0x30
	v_mov_b32_e32 v3, 0
	ds_read_b64 v[4:5], v2 offset:12288
	s_waitcnt lgkmcnt(0)
	s_mul_i32 s2, s2, s7
	v_add_u32_e32 v2, s2, v1
	v_lshlrev_b64 v[0:1], 3, v[2:3]
	v_mov_b32_e32 v6, s1
	v_add_co_u32_e32 v0, vcc, s0, v0
	v_addc_co_u32_e32 v1, vcc, v6, v1, vcc
	global_store_dwordx2 v[0:1], v[4:5], off
.LBB45_4:
	s_endpgm
	.section	.rodata,"a",@progbits
	.p2align	6, 0x0
	.amdhsa_kernel _ZN9rocsparseL30gtsv_nopivot_pcr_stage2_kernelILj512EdEEviiiPKT0_S3_S3_S3_PS1_
		.amdhsa_group_segment_fixed_size 20480
		.amdhsa_private_segment_fixed_size 0
		.amdhsa_kernarg_size 312
		.amdhsa_user_sgpr_count 6
		.amdhsa_user_sgpr_private_segment_buffer 1
		.amdhsa_user_sgpr_dispatch_ptr 0
		.amdhsa_user_sgpr_queue_ptr 0
		.amdhsa_user_sgpr_kernarg_segment_ptr 1
		.amdhsa_user_sgpr_dispatch_id 0
		.amdhsa_user_sgpr_flat_scratch_init 0
		.amdhsa_user_sgpr_private_segment_size 0
		.amdhsa_uses_dynamic_stack 0
		.amdhsa_system_sgpr_private_segment_wavefront_offset 0
		.amdhsa_system_sgpr_workgroup_id_x 1
		.amdhsa_system_sgpr_workgroup_id_y 1
		.amdhsa_system_sgpr_workgroup_id_z 0
		.amdhsa_system_sgpr_workgroup_info 0
		.amdhsa_system_vgpr_workitem_id 0
		.amdhsa_next_free_vgpr 37
		.amdhsa_next_free_sgpr 93
		.amdhsa_reserve_vcc 1
		.amdhsa_reserve_flat_scratch 0
		.amdhsa_float_round_mode_32 0
		.amdhsa_float_round_mode_16_64 0
		.amdhsa_float_denorm_mode_32 3
		.amdhsa_float_denorm_mode_16_64 3
		.amdhsa_dx10_clamp 1
		.amdhsa_ieee_mode 1
		.amdhsa_fp16_overflow 0
		.amdhsa_exception_fp_ieee_invalid_op 0
		.amdhsa_exception_fp_denorm_src 0
		.amdhsa_exception_fp_ieee_div_zero 0
		.amdhsa_exception_fp_ieee_overflow 0
		.amdhsa_exception_fp_ieee_underflow 0
		.amdhsa_exception_fp_ieee_inexact 0
		.amdhsa_exception_int_div_zero 0
	.end_amdhsa_kernel
	.section	.text._ZN9rocsparseL30gtsv_nopivot_pcr_stage2_kernelILj512EdEEviiiPKT0_S3_S3_S3_PS1_,"axG",@progbits,_ZN9rocsparseL30gtsv_nopivot_pcr_stage2_kernelILj512EdEEviiiPKT0_S3_S3_S3_PS1_,comdat
.Lfunc_end45:
	.size	_ZN9rocsparseL30gtsv_nopivot_pcr_stage2_kernelILj512EdEEviiiPKT0_S3_S3_S3_PS1_, .Lfunc_end45-_ZN9rocsparseL30gtsv_nopivot_pcr_stage2_kernelILj512EdEEviiiPKT0_S3_S3_S3_PS1_
                                        ; -- End function
	.set _ZN9rocsparseL30gtsv_nopivot_pcr_stage2_kernelILj512EdEEviiiPKT0_S3_S3_S3_PS1_.num_vgpr, 35
	.set _ZN9rocsparseL30gtsv_nopivot_pcr_stage2_kernelILj512EdEEviiiPKT0_S3_S3_S3_PS1_.num_agpr, 0
	.set _ZN9rocsparseL30gtsv_nopivot_pcr_stage2_kernelILj512EdEEviiiPKT0_S3_S3_S3_PS1_.numbered_sgpr, 18
	.set _ZN9rocsparseL30gtsv_nopivot_pcr_stage2_kernelILj512EdEEviiiPKT0_S3_S3_S3_PS1_.num_named_barrier, 0
	.set _ZN9rocsparseL30gtsv_nopivot_pcr_stage2_kernelILj512EdEEviiiPKT0_S3_S3_S3_PS1_.private_seg_size, 0
	.set _ZN9rocsparseL30gtsv_nopivot_pcr_stage2_kernelILj512EdEEviiiPKT0_S3_S3_S3_PS1_.uses_vcc, 1
	.set _ZN9rocsparseL30gtsv_nopivot_pcr_stage2_kernelILj512EdEEviiiPKT0_S3_S3_S3_PS1_.uses_flat_scratch, 0
	.set _ZN9rocsparseL30gtsv_nopivot_pcr_stage2_kernelILj512EdEEviiiPKT0_S3_S3_S3_PS1_.has_dyn_sized_stack, 0
	.set _ZN9rocsparseL30gtsv_nopivot_pcr_stage2_kernelILj512EdEEviiiPKT0_S3_S3_S3_PS1_.has_recursion, 0
	.set _ZN9rocsparseL30gtsv_nopivot_pcr_stage2_kernelILj512EdEEviiiPKT0_S3_S3_S3_PS1_.has_indirect_call, 0
	.section	.AMDGPU.csdata,"",@progbits
; Kernel info:
; codeLenInByte = 3304
; TotalNumSgprs: 22
; NumVgprs: 35
; ScratchSize: 0
; MemoryBound: 1
; FloatMode: 240
; IeeeMode: 1
; LDSByteSize: 20480 bytes/workgroup (compile time only)
; SGPRBlocks: 12
; VGPRBlocks: 9
; NumSGPRsForWavesPerEU: 97
; NumVGPRsForWavesPerEU: 37
; Occupancy: 6
; WaveLimiterHint : 1
; COMPUTE_PGM_RSRC2:SCRATCH_EN: 0
; COMPUTE_PGM_RSRC2:USER_SGPR: 6
; COMPUTE_PGM_RSRC2:TRAP_HANDLER: 0
; COMPUTE_PGM_RSRC2:TGID_X_EN: 1
; COMPUTE_PGM_RSRC2:TGID_Y_EN: 1
; COMPUTE_PGM_RSRC2:TGID_Z_EN: 0
; COMPUTE_PGM_RSRC2:TIDIG_COMP_CNT: 0
	.section	.text._ZN9rocsparseL35gtsv_nopivot_pcr_pow2_stage1_kernelILj256EdEEviiiiPKT0_S3_S3_S3_PS1_S4_S4_S4_,"axG",@progbits,_ZN9rocsparseL35gtsv_nopivot_pcr_pow2_stage1_kernelILj256EdEEviiiiPKT0_S3_S3_S3_PS1_S4_S4_S4_,comdat
	.globl	_ZN9rocsparseL35gtsv_nopivot_pcr_pow2_stage1_kernelILj256EdEEviiiiPKT0_S3_S3_S3_PS1_S4_S4_S4_ ; -- Begin function _ZN9rocsparseL35gtsv_nopivot_pcr_pow2_stage1_kernelILj256EdEEviiiiPKT0_S3_S3_S3_PS1_S4_S4_S4_
	.p2align	8
	.type	_ZN9rocsparseL35gtsv_nopivot_pcr_pow2_stage1_kernelILj256EdEEviiiiPKT0_S3_S3_S3_PS1_S4_S4_S4_,@function
_ZN9rocsparseL35gtsv_nopivot_pcr_pow2_stage1_kernelILj256EdEEviiiiPKT0_S3_S3_S3_PS1_S4_S4_S4_: ; @_ZN9rocsparseL35gtsv_nopivot_pcr_pow2_stage1_kernelILj256EdEEviiiiPKT0_S3_S3_S3_PS1_S4_S4_S4_
; %bb.0:
	s_load_dwordx2 s[16:17], s[4:5], 0x40
	s_load_dwordx8 s[8:15], s[4:5], 0x0
	s_load_dwordx2 s[18:19], s[4:5], 0x20
	s_load_dwordx4 s[0:3], s[4:5], 0x30
	v_lshl_or_b32 v0, s6, 8, v0
	s_waitcnt lgkmcnt(0)
	v_add_u32_e32 v1, s8, v0
	s_add_i32 s6, s9, -1
	v_min_i32_e32 v6, s6, v1
	v_subrev_u32_e32 v1, s8, v0
	v_max_i32_e32 v2, 0, v1
	v_ashrrev_i32_e32 v1, 31, v0
	v_lshlrev_b64 v[0:1], 3, v[0:1]
	v_mov_b32_e32 v20, s13
	v_add_co_u32_e32 v3, vcc, s12, v0
	v_addc_co_u32_e32 v4, vcc, v20, v1, vcc
	global_load_dwordx2 v[4:5], v[3:4], off
	v_mov_b32_e32 v3, 0
	v_lshlrev_b64 v[2:3], 3, v[2:3]
	v_mov_b32_e32 v21, s15
	v_add_co_u32_e32 v7, vcc, s14, v2
	v_addc_co_u32_e32 v8, vcc, v21, v3, vcc
	global_load_dwordx2 v[7:8], v[7:8], off
	v_mov_b32_e32 v22, s19
	s_cmp_lt_i32 s10, 1
	s_waitcnt vmcnt(0)
	v_div_scale_f64 v[9:10], s[6:7], v[7:8], v[7:8], v[4:5]
	v_rcp_f64_e32 v[11:12], v[9:10]
	v_fma_f64 v[13:14], -v[9:10], v[11:12], 1.0
	v_fma_f64 v[11:12], v[11:12], v[13:14], v[11:12]
	v_fma_f64 v[13:14], -v[9:10], v[11:12], 1.0
	v_fma_f64 v[11:12], v[11:12], v[13:14], v[11:12]
	v_div_scale_f64 v[13:14], vcc, v[4:5], v[7:8], v[4:5]
	v_mul_f64 v[15:16], v[13:14], v[11:12]
	v_fma_f64 v[9:10], -v[9:10], v[15:16], v[13:14]
	s_nop 1
	v_div_fmas_f64 v[9:10], v[9:10], v[11:12], v[15:16]
	v_div_fixup_f64 v[4:5], v[9:10], v[7:8], v[4:5]
	v_add_co_u32_e32 v7, vcc, s18, v0
	v_addc_co_u32_e32 v8, vcc, v22, v1, vcc
	global_load_dwordx2 v[8:9], v[7:8], off
	v_ashrrev_i32_e32 v7, 31, v6
	v_lshlrev_b64 v[6:7], 3, v[6:7]
	v_add_co_u32_e32 v10, vcc, s14, v6
	v_addc_co_u32_e32 v11, vcc, v21, v7, vcc
	global_load_dwordx2 v[10:11], v[10:11], off
	s_waitcnt vmcnt(0)
	v_div_scale_f64 v[12:13], s[6:7], v[10:11], v[10:11], v[8:9]
	v_rcp_f64_e32 v[14:15], v[12:13]
	v_fma_f64 v[16:17], -v[12:13], v[14:15], 1.0
	v_fma_f64 v[14:15], v[14:15], v[16:17], v[14:15]
	v_fma_f64 v[16:17], -v[12:13], v[14:15], 1.0
	v_fma_f64 v[14:15], v[14:15], v[16:17], v[14:15]
	v_div_scale_f64 v[16:17], vcc, v[8:9], v[10:11], v[8:9]
	v_mul_f64 v[18:19], v[16:17], v[14:15]
	v_fma_f64 v[12:13], -v[12:13], v[18:19], v[16:17]
	s_nop 1
	v_div_fmas_f64 v[12:13], v[12:13], v[14:15], v[18:19]
	v_div_fixup_f64 v[8:9], v[12:13], v[10:11], v[8:9]
	v_add_co_u32_e32 v10, vcc, s12, v2
	v_addc_co_u32_e32 v11, vcc, v20, v3, vcc
	v_add_co_u32_e32 v12, vcc, s18, v6
	v_addc_co_u32_e32 v13, vcc, v22, v7, vcc
	;; [unrolled: 2-line block ×4, first 2 shown]
	global_load_dwordx2 v[14:15], v[14:15], off
	s_nop 0
	global_load_dwordx2 v[16:17], v[16:17], off
	s_waitcnt vmcnt(0)
	v_fma_f64 v[14:15], -v[4:5], v[16:17], v[14:15]
	v_add_co_u32_e32 v16, vcc, s12, v6
	v_addc_co_u32_e32 v17, vcc, v20, v7, vcc
	global_load_dwordx2 v[16:17], v[16:17], off
	s_waitcnt vmcnt(0)
	v_fma_f64 v[14:15], -v[8:9], v[16:17], v[14:15]
	global_load_dwordx2 v[10:11], v[10:11], off
	v_add_co_u32_e32 v16, vcc, s2, v0
	global_load_dwordx2 v[12:13], v[12:13], off
	v_mov_b32_e32 v17, s3
	v_addc_co_u32_e32 v17, vcc, v17, v1, vcc
	global_store_dwordx2 v[16:17], v[14:15], off
	v_add_co_u32_e32 v14, vcc, s0, v0
	v_mov_b32_e32 v15, s1
	v_addc_co_u32_e32 v15, vcc, v15, v1, vcc
	s_waitcnt vmcnt(2)
	v_mul_f64 v[10:11], v[4:5], -v[10:11]
	global_store_dwordx2 v[14:15], v[10:11], off
	s_waitcnt vmcnt(2)
	v_mul_f64 v[10:11], v[8:9], -v[12:13]
	v_add_co_u32_e32 v12, vcc, s16, v0
	v_mov_b32_e32 v13, s17
	v_addc_co_u32_e32 v13, vcc, v13, v1, vcc
	global_store_dwordx2 v[12:13], v[10:11], off
	s_cbranch_scc1 .LBB46_3
; %bb.1:
	s_load_dwordx2 s[0:1], s[4:5], 0x48
	s_load_dwordx2 s[6:7], s[4:5], 0x28
	s_waitcnt lgkmcnt(0)
	v_mov_b32_e32 v11, s1
	v_add_co_u32_e32 v10, vcc, s0, v0
	s_ashr_i32 s1, s9, 31
	s_mov_b32 s0, s9
	s_lshl_b64 s[4:5], s[0:1], 3
	s_ashr_i32 s1, s11, 31
	s_mov_b32 s0, s11
	v_addc_co_u32_e32 v11, vcc, v11, v1, vcc
	s_lshl_b64 s[8:9], s[0:1], 3
.LBB46_2:                               ; =>This Inner Loop Header: Depth=1
	v_mov_b32_e32 v15, s7
	v_add_co_u32_e32 v12, vcc, s6, v2
	v_add_co_u32_e64 v14, s[0:1], s6, v0
	v_add_co_u32_e64 v16, s[2:3], s6, v6
	v_addc_co_u32_e32 v13, vcc, v15, v3, vcc
	v_addc_co_u32_e64 v17, s[2:3], v15, v7, s[2:3]
	v_addc_co_u32_e64 v15, vcc, v15, v1, s[0:1]
	global_load_dwordx2 v[18:19], v[12:13], off
	global_load_dwordx2 v[20:21], v[14:15], off
	;; [unrolled: 1-line block ×3, first 2 shown]
	s_add_i32 s10, s10, -1
	s_add_u32 s6, s6, s8
	v_mov_b32_e32 v14, s5
	s_addc_u32 s7, s7, s9
	s_cmp_eq_u32 s10, 0
	s_waitcnt vmcnt(1)
	v_fma_f64 v[12:13], -v[4:5], v[18:19], v[20:21]
	s_waitcnt vmcnt(0)
	v_fma_f64 v[12:13], -v[8:9], v[22:23], v[12:13]
	global_store_dwordx2 v[10:11], v[12:13], off
	v_add_co_u32_e32 v10, vcc, s4, v10
	v_addc_co_u32_e32 v11, vcc, v11, v14, vcc
	s_cbranch_scc0 .LBB46_2
.LBB46_3:
	s_endpgm
	.section	.rodata,"a",@progbits
	.p2align	6, 0x0
	.amdhsa_kernel _ZN9rocsparseL35gtsv_nopivot_pcr_pow2_stage1_kernelILj256EdEEviiiiPKT0_S3_S3_S3_PS1_S4_S4_S4_
		.amdhsa_group_segment_fixed_size 0
		.amdhsa_private_segment_fixed_size 0
		.amdhsa_kernarg_size 80
		.amdhsa_user_sgpr_count 6
		.amdhsa_user_sgpr_private_segment_buffer 1
		.amdhsa_user_sgpr_dispatch_ptr 0
		.amdhsa_user_sgpr_queue_ptr 0
		.amdhsa_user_sgpr_kernarg_segment_ptr 1
		.amdhsa_user_sgpr_dispatch_id 0
		.amdhsa_user_sgpr_flat_scratch_init 0
		.amdhsa_user_sgpr_private_segment_size 0
		.amdhsa_uses_dynamic_stack 0
		.amdhsa_system_sgpr_private_segment_wavefront_offset 0
		.amdhsa_system_sgpr_workgroup_id_x 1
		.amdhsa_system_sgpr_workgroup_id_y 0
		.amdhsa_system_sgpr_workgroup_id_z 0
		.amdhsa_system_sgpr_workgroup_info 0
		.amdhsa_system_vgpr_workitem_id 0
		.amdhsa_next_free_vgpr 24
		.amdhsa_next_free_sgpr 20
		.amdhsa_reserve_vcc 1
		.amdhsa_reserve_flat_scratch 0
		.amdhsa_float_round_mode_32 0
		.amdhsa_float_round_mode_16_64 0
		.amdhsa_float_denorm_mode_32 3
		.amdhsa_float_denorm_mode_16_64 3
		.amdhsa_dx10_clamp 1
		.amdhsa_ieee_mode 1
		.amdhsa_fp16_overflow 0
		.amdhsa_exception_fp_ieee_invalid_op 0
		.amdhsa_exception_fp_denorm_src 0
		.amdhsa_exception_fp_ieee_div_zero 0
		.amdhsa_exception_fp_ieee_overflow 0
		.amdhsa_exception_fp_ieee_underflow 0
		.amdhsa_exception_fp_ieee_inexact 0
		.amdhsa_exception_int_div_zero 0
	.end_amdhsa_kernel
	.section	.text._ZN9rocsparseL35gtsv_nopivot_pcr_pow2_stage1_kernelILj256EdEEviiiiPKT0_S3_S3_S3_PS1_S4_S4_S4_,"axG",@progbits,_ZN9rocsparseL35gtsv_nopivot_pcr_pow2_stage1_kernelILj256EdEEviiiiPKT0_S3_S3_S3_PS1_S4_S4_S4_,comdat
.Lfunc_end46:
	.size	_ZN9rocsparseL35gtsv_nopivot_pcr_pow2_stage1_kernelILj256EdEEviiiiPKT0_S3_S3_S3_PS1_S4_S4_S4_, .Lfunc_end46-_ZN9rocsparseL35gtsv_nopivot_pcr_pow2_stage1_kernelILj256EdEEviiiiPKT0_S3_S3_S3_PS1_S4_S4_S4_
                                        ; -- End function
	.set _ZN9rocsparseL35gtsv_nopivot_pcr_pow2_stage1_kernelILj256EdEEviiiiPKT0_S3_S3_S3_PS1_S4_S4_S4_.num_vgpr, 24
	.set _ZN9rocsparseL35gtsv_nopivot_pcr_pow2_stage1_kernelILj256EdEEviiiiPKT0_S3_S3_S3_PS1_S4_S4_S4_.num_agpr, 0
	.set _ZN9rocsparseL35gtsv_nopivot_pcr_pow2_stage1_kernelILj256EdEEviiiiPKT0_S3_S3_S3_PS1_S4_S4_S4_.numbered_sgpr, 20
	.set _ZN9rocsparseL35gtsv_nopivot_pcr_pow2_stage1_kernelILj256EdEEviiiiPKT0_S3_S3_S3_PS1_S4_S4_S4_.num_named_barrier, 0
	.set _ZN9rocsparseL35gtsv_nopivot_pcr_pow2_stage1_kernelILj256EdEEviiiiPKT0_S3_S3_S3_PS1_S4_S4_S4_.private_seg_size, 0
	.set _ZN9rocsparseL35gtsv_nopivot_pcr_pow2_stage1_kernelILj256EdEEviiiiPKT0_S3_S3_S3_PS1_S4_S4_S4_.uses_vcc, 1
	.set _ZN9rocsparseL35gtsv_nopivot_pcr_pow2_stage1_kernelILj256EdEEviiiiPKT0_S3_S3_S3_PS1_S4_S4_S4_.uses_flat_scratch, 0
	.set _ZN9rocsparseL35gtsv_nopivot_pcr_pow2_stage1_kernelILj256EdEEviiiiPKT0_S3_S3_S3_PS1_S4_S4_S4_.has_dyn_sized_stack, 0
	.set _ZN9rocsparseL35gtsv_nopivot_pcr_pow2_stage1_kernelILj256EdEEviiiiPKT0_S3_S3_S3_PS1_S4_S4_S4_.has_recursion, 0
	.set _ZN9rocsparseL35gtsv_nopivot_pcr_pow2_stage1_kernelILj256EdEEviiiiPKT0_S3_S3_S3_PS1_S4_S4_S4_.has_indirect_call, 0
	.section	.AMDGPU.csdata,"",@progbits
; Kernel info:
; codeLenInByte = 752
; TotalNumSgprs: 24
; NumVgprs: 24
; ScratchSize: 0
; MemoryBound: 0
; FloatMode: 240
; IeeeMode: 1
; LDSByteSize: 0 bytes/workgroup (compile time only)
; SGPRBlocks: 2
; VGPRBlocks: 5
; NumSGPRsForWavesPerEU: 24
; NumVGPRsForWavesPerEU: 24
; Occupancy: 10
; WaveLimiterHint : 0
; COMPUTE_PGM_RSRC2:SCRATCH_EN: 0
; COMPUTE_PGM_RSRC2:USER_SGPR: 6
; COMPUTE_PGM_RSRC2:TRAP_HANDLER: 0
; COMPUTE_PGM_RSRC2:TGID_X_EN: 1
; COMPUTE_PGM_RSRC2:TGID_Y_EN: 0
; COMPUTE_PGM_RSRC2:TGID_Z_EN: 0
; COMPUTE_PGM_RSRC2:TIDIG_COMP_CNT: 0
	.section	.text._ZN9rocsparseL38gtsv_nopivot_thomas_pow2_stage2_kernelILj256ELj512EdEEviiiiPKT1_S3_S3_S3_PS1_S4_S4_S4_S4_,"axG",@progbits,_ZN9rocsparseL38gtsv_nopivot_thomas_pow2_stage2_kernelILj256ELj512EdEEviiiiPKT1_S3_S3_S3_PS1_S4_S4_S4_S4_,comdat
	.globl	_ZN9rocsparseL38gtsv_nopivot_thomas_pow2_stage2_kernelILj256ELj512EdEEviiiiPKT1_S3_S3_S3_PS1_S4_S4_S4_S4_ ; -- Begin function _ZN9rocsparseL38gtsv_nopivot_thomas_pow2_stage2_kernelILj256ELj512EdEEviiiiPKT1_S3_S3_S3_PS1_S4_S4_S4_S4_
	.p2align	8
	.type	_ZN9rocsparseL38gtsv_nopivot_thomas_pow2_stage2_kernelILj256ELj512EdEEviiiiPKT1_S3_S3_S3_PS1_S4_S4_S4_S4_,@function
_ZN9rocsparseL38gtsv_nopivot_thomas_pow2_stage2_kernelILj256ELj512EdEEviiiiPKT1_S3_S3_S3_PS1_S4_S4_S4_S4_: ; @_ZN9rocsparseL38gtsv_nopivot_thomas_pow2_stage2_kernelILj256ELj512EdEEviiiiPKT1_S3_S3_S3_PS1_S4_S4_S4_S4_
; %bb.0:
	s_load_dwordx2 s[16:17], s[4:5], 0x0
	s_lshl_b32 s6, s6, 8
	v_or_b32_e32 v3, s6, v0
	s_waitcnt lgkmcnt(0)
	v_cmp_gt_i32_e32 vcc, s16, v3
	s_and_saveexec_b64 s[0:1], vcc
	s_cbranch_execz .LBB47_9
; %bb.1:
	s_load_dwordx8 s[8:15], s[4:5], 0x10
	v_ashrrev_i32_e32 v4, 31, v3
	v_lshlrev_b64 v[1:2], 3, v[3:4]
	s_mul_i32 s17, s17, s7
	v_mov_b32_e32 v9, 0
	s_waitcnt lgkmcnt(0)
	v_mov_b32_e32 v5, s13
	v_add_co_u32_e32 v4, vcc, s12, v1
	v_addc_co_u32_e32 v5, vcc, v5, v2, vcc
	v_mov_b32_e32 v7, s11
	v_add_co_u32_e32 v6, vcc, s10, v1
	v_addc_co_u32_e32 v7, vcc, v7, v2, vcc
	global_load_dwordx2 v[10:11], v[4:5], off
	global_load_dwordx2 v[12:13], v[6:7], off
	v_add_u32_e32 v8, s17, v3
	v_lshlrev_b64 v[20:21], 3, v[8:9]
	v_mov_b32_e32 v8, s15
	v_add_co_u32_e32 v14, vcc, s14, v20
	v_addc_co_u32_e32 v15, vcc, v8, v21, vcc
	global_load_dwordx2 v[22:23], v[14:15], off
	s_add_i32 s12, s6, s16
	s_lshl_b32 s18, s16, 1
	s_mov_b32 s20, 0
	s_movk_i32 s19, 0x1fe
	s_waitcnt vmcnt(1)
	v_div_scale_f64 v[14:15], s[0:1], v[12:13], v[12:13], v[10:11]
	v_rcp_f64_e32 v[16:17], v[14:15]
	v_fma_f64 v[18:19], -v[14:15], v[16:17], 1.0
	v_fma_f64 v[16:17], v[16:17], v[18:19], v[16:17]
	v_div_scale_f64 v[18:19], vcc, v[10:11], v[12:13], v[10:11]
	v_fma_f64 v[24:25], -v[14:15], v[16:17], 1.0
	v_fma_f64 v[16:17], v[16:17], v[24:25], v[16:17]
	v_mul_f64 v[24:25], v[18:19], v[16:17]
	v_fma_f64 v[14:15], -v[14:15], v[24:25], v[18:19]
	s_waitcnt vmcnt(0)
	v_div_scale_f64 v[18:19], s[0:1], v[12:13], v[12:13], v[22:23]
	s_load_dwordx2 s[10:11], s[4:5], 0x50
	s_load_dwordx4 s[0:3], s[4:5], 0x40
	v_div_fmas_f64 v[24:25], v[14:15], v[16:17], v[24:25]
	s_waitcnt lgkmcnt(0)
	v_mov_b32_e32 v8, s1
	v_rcp_f64_e32 v[14:15], v[18:19]
	v_div_fixup_f64 v[10:11], v[24:25], v[12:13], v[10:11]
	v_fma_f64 v[16:17], -v[18:19], v[14:15], 1.0
	v_fma_f64 v[14:15], v[14:15], v[16:17], v[14:15]
	v_fma_f64 v[16:17], -v[18:19], v[14:15], 1.0
	v_fma_f64 v[14:15], v[14:15], v[16:17], v[14:15]
	v_div_scale_f64 v[16:17], vcc, v[22:23], v[12:13], v[22:23]
	v_mul_f64 v[26:27], v[16:17], v[14:15]
	v_fma_f64 v[16:17], -v[18:19], v[26:27], v[16:17]
	s_nop 1
	v_div_fmas_f64 v[26:27], v[16:17], v[14:15], v[26:27]
	v_add_u32_e32 v14, s17, v0
	v_add_co_u32_e32 v1, vcc, s0, v1
	v_add_u32_e32 v16, s12, v0
	v_add_u32_e32 v17, s6, v14
	v_addc_co_u32_e32 v2, vcc, v8, v2, vcc
	v_add_u32_e32 v15, s18, v3
	v_add_u32_e32 v18, s17, v16
	;; [unrolled: 1-line block ×3, first 2 shown]
	v_add_co_u32_e32 v20, vcc, s2, v20
	v_div_fixup_f64 v[12:13], v[26:27], v[12:13], v[22:23]
	v_mov_b32_e32 v22, s3
	v_addc_co_u32_e32 v21, vcc, v22, v21, vcc
	global_store_dwordx2 v[1:2], v[10:11], off
	global_store_dwordx2 v[20:21], v[12:13], off
	s_branch .LBB47_3
.LBB47_2:
                                        ; implicit-def: $sgpr20
                                        ; implicit-def: $sgpr19
                                        ; implicit-def: $vgpr10_vgpr11
	s_branch .LBB47_5
.LBB47_3:                               ; =>This Inner Loop Header: Depth=1
	v_add_u32_e32 v12, s20, v16
	v_ashrrev_i32_e32 v13, 31, v12
	v_lshlrev_b64 v[12:13], 3, v[12:13]
	s_add_i32 s0, s16, s20
	v_add_co_u32_e32 v12, vcc, s8, v12
	v_mov_b32_e32 v8, s9
	s_ashr_i32 s1, s0, 31
	v_addc_co_u32_e32 v13, vcc, v8, v13, vcc
	s_lshl_b64 s[0:1], s[0:1], 3
	v_add_co_u32_e32 v20, vcc, s0, v6
	v_mov_b32_e32 v28, s1
	v_addc_co_u32_e32 v21, vcc, v7, v28, vcc
	global_load_dwordx2 v[22:23], v[20:21], off
	global_load_dwordx2 v[24:25], v[12:13], off
	v_add_u32_e32 v8, s20, v18
	v_mov_b32_e32 v29, s3
	s_cmp_eq_u32 s19, 0
	s_waitcnt vmcnt(0)
	v_fma_f64 v[10:11], -v[10:11], v[24:25], v[22:23]
	v_div_scale_f64 v[12:13], s[12:13], v[10:11], v[10:11], 1.0
	v_rcp_f64_e32 v[20:21], v[12:13]
	v_fma_f64 v[22:23], -v[12:13], v[20:21], 1.0
	v_fma_f64 v[20:21], v[20:21], v[22:23], v[20:21]
	v_fma_f64 v[22:23], -v[12:13], v[20:21], 1.0
	v_fma_f64 v[20:21], v[20:21], v[22:23], v[20:21]
	v_div_scale_f64 v[22:23], vcc, 1.0, v[10:11], 1.0
	v_mul_f64 v[26:27], v[22:23], v[20:21]
	v_fma_f64 v[12:13], -v[12:13], v[26:27], v[22:23]
	s_nop 1
	v_div_fmas_f64 v[12:13], v[12:13], v[20:21], v[26:27]
	v_lshlrev_b64 v[20:21], 3, v[8:9]
	v_add_u32_e32 v8, s20, v17
	v_lshlrev_b64 v[22:23], 3, v[8:9]
	v_mov_b32_e32 v8, s15
	v_add_co_u32_e32 v22, vcc, s2, v22
	v_addc_co_u32_e32 v23, vcc, v29, v23, vcc
	v_add_co_u32_e32 v26, vcc, s14, v20
	v_addc_co_u32_e32 v27, vcc, v8, v21, vcc
	global_load_dwordx2 v[26:27], v[26:27], off
	s_nop 0
	global_load_dwordx2 v[22:23], v[22:23], off
	v_add_co_u32_e32 v20, vcc, s2, v20
	v_addc_co_u32_e32 v21, vcc, v29, v21, vcc
	v_div_fixup_f64 v[12:13], v[12:13], v[10:11], 1.0
	v_add_co_u32_e32 v10, vcc, s0, v4
	v_addc_co_u32_e32 v11, vcc, v5, v28, vcc
	global_load_dwordx2 v[10:11], v[10:11], off
	s_waitcnt vmcnt(1)
	v_fma_f64 v[22:23], -v[24:25], v[22:23], v[26:27]
	s_waitcnt vmcnt(0)
	v_mul_f64 v[10:11], v[10:11], v[12:13]
	v_mul_f64 v[12:13], v[12:13], v[22:23]
	v_add_co_u32_e32 v22, vcc, s0, v1
	v_addc_co_u32_e32 v23, vcc, v2, v28, vcc
	global_store_dwordx2 v[22:23], v[10:11], off
	global_store_dwordx2 v[20:21], v[12:13], off
	s_cbranch_scc1 .LBB47_2
; %bb.4:                                ;   in Loop: Header=BB47_3 Depth=1
	s_add_i32 s0, s18, s20
	v_add_u32_e32 v20, s20, v15
	s_ashr_i32 s1, s0, 31
	v_ashrrev_i32_e32 v21, 31, v20
	s_lshl_b64 s[12:13], s[0:1], 3
	v_add_co_u32_e32 v22, vcc, s12, v6
	v_mov_b32_e32 v8, s13
	v_lshlrev_b64 v[20:21], 3, v[20:21]
	v_addc_co_u32_e32 v23, vcc, v7, v8, vcc
	v_add_co_u32_e32 v20, vcc, s8, v20
	v_mov_b32_e32 v24, s9
	v_addc_co_u32_e32 v21, vcc, v24, v21, vcc
	global_load_dwordx2 v[22:23], v[22:23], off
	s_add_i32 s19, s19, -2
	global_load_dwordx2 v[20:21], v[20:21], off
	s_waitcnt vmcnt(0)
	v_fma_f64 v[10:11], -v[10:11], v[20:21], v[22:23]
	v_div_scale_f64 v[22:23], s[22:23], v[10:11], v[10:11], 1.0
	v_rcp_f64_e32 v[24:25], v[22:23]
	v_fma_f64 v[26:27], -v[22:23], v[24:25], 1.0
	v_fma_f64 v[24:25], v[24:25], v[26:27], v[24:25]
	v_fma_f64 v[26:27], -v[22:23], v[24:25], 1.0
	v_fma_f64 v[24:25], v[24:25], v[26:27], v[24:25]
	v_div_scale_f64 v[26:27], vcc, 1.0, v[10:11], 1.0
	v_mul_f64 v[28:29], v[26:27], v[24:25]
	v_fma_f64 v[22:23], -v[22:23], v[28:29], v[26:27]
	s_nop 1
	v_div_fmas_f64 v[22:23], v[22:23], v[24:25], v[28:29]
	v_div_fixup_f64 v[22:23], v[22:23], v[10:11], 1.0
	v_add_co_u32_e32 v10, vcc, s12, v4
	v_addc_co_u32_e32 v11, vcc, v5, v8, vcc
	global_load_dwordx2 v[10:11], v[10:11], off
	v_add_co_u32_e32 v24, vcc, s12, v1
	v_addc_co_u32_e32 v25, vcc, v2, v8, vcc
	v_add_u32_e32 v8, s20, v19
	s_mov_b32 s20, s0
	s_waitcnt vmcnt(0)
	v_mul_f64 v[10:11], v[10:11], v[22:23]
	global_store_dwordx2 v[24:25], v[10:11], off
	v_lshlrev_b64 v[24:25], 3, v[8:9]
	v_mov_b32_e32 v8, s15
	v_add_co_u32_e32 v26, vcc, s14, v24
	v_addc_co_u32_e32 v27, vcc, v8, v25, vcc
	global_load_dwordx2 v[26:27], v[26:27], off
	v_mov_b32_e32 v8, s3
	s_waitcnt vmcnt(0)
	v_fma_f64 v[12:13], -v[20:21], v[12:13], v[26:27]
	v_add_co_u32_e32 v20, vcc, s2, v24
	v_addc_co_u32_e32 v21, vcc, v8, v25, vcc
	v_mul_f64 v[12:13], v[22:23], v[12:13]
	global_store_dwordx2 v[20:21], v[12:13], off
	s_cbranch_execnz .LBB47_3
.LBB47_5:
	s_mul_i32 s0, s16, 0x1ff
	v_add_u32_e32 v11, s0, v3
	v_add_u32_e32 v3, s17, v11
	v_mov_b32_e32 v4, 0
	v_lshlrev_b64 v[5:6], 3, v[3:4]
	v_mov_b32_e32 v3, s3
	v_add_co_u32_e32 v5, vcc, s2, v5
	v_addc_co_u32_e32 v6, vcc, v3, v6, vcc
	global_load_dwordx2 v[5:6], v[5:6], off
	s_load_dword s1, s[4:5], 0xc
	s_mul_i32 s4, s16, 0x1fe
	s_mul_i32 s8, s16, 0x1fc
	s_mul_i32 s9, s16, 0x1fd
	s_mul_i32 s12, s16, 0x1fb
	s_waitcnt lgkmcnt(0)
	s_mul_i32 s1, s1, s7
	v_add_u32_e32 v3, s1, v11
	v_lshlrev_b64 v[15:16], 3, v[3:4]
	s_lshl_b32 s5, s16, 2
	s_add_i32 s14, s6, s4
	s_add_i32 s15, s6, s8
	;; [unrolled: 1-line block ×4, first 2 shown]
	v_mov_b32_e32 v17, s11
	s_add_i32 s6, s6, s0
	v_add_u32_e32 v7, s15, v14
	v_add_u32_e32 v8, s17, v14
	v_add_u32_e32 v9, s16, v14
	v_add_u32_e32 v10, s14, v14
	v_add_u32_e32 v14, s1, v0
	v_add_co_u32_e32 v15, vcc, s10, v15
	s_movk_i32 s13, 0xfe04
	v_add_u32_e32 v0, s14, v14
	v_add_u32_e32 v11, s15, v14
	;; [unrolled: 1-line block ×5, first 2 shown]
	v_addc_co_u32_e32 v16, vcc, v17, v16, vcc
	s_mov_b32 s6, 0
	s_waitcnt vmcnt(0)
	global_store_dwordx2 v[15:16], v[5:6], off
	s_branch .LBB47_7
.LBB47_6:                               ;   in Loop: Header=BB47_7 Depth=1
	v_add_u32_e32 v3, s6, v8
	v_lshlrev_b64 v[15:16], 3, v[3:4]
	s_add_i32 s0, s12, s6
	v_mov_b32_e32 v3, s3
	v_add_co_u32_e32 v15, vcc, s2, v15
	s_ashr_i32 s1, s0, 31
	v_addc_co_u32_e32 v16, vcc, v3, v16, vcc
	s_lshl_b64 s[0:1], s[0:1], 3
	v_mov_b32_e32 v3, s1
	v_add_co_u32_e32 v17, vcc, s0, v1
	v_addc_co_u32_e32 v18, vcc, v2, v3, vcc
	global_load_dwordx2 v[15:16], v[15:16], off
	v_add_u32_e32 v3, s6, v13
	global_load_dwordx2 v[17:18], v[17:18], off
	v_mov_b32_e32 v19, s11
	s_add_i32 s13, s13, 4
	s_sub_i32 s6, s6, s5
	s_waitcnt vmcnt(0)
	v_fma_f64 v[5:6], -v[17:18], v[5:6], v[15:16]
	v_lshlrev_b64 v[15:16], 3, v[3:4]
	v_add_co_u32_e32 v15, vcc, s10, v15
	v_addc_co_u32_e32 v16, vcc, v19, v16, vcc
	global_store_dwordx2 v[15:16], v[5:6], off
	s_cbranch_execz .LBB47_9
.LBB47_7:                               ; =>This Inner Loop Header: Depth=1
	v_add_u32_e32 v3, s6, v10
	v_lshlrev_b64 v[5:6], 3, v[3:4]
	s_add_i32 s0, s4, s6
	v_mov_b32_e32 v27, s3
	v_add_co_u32_e32 v5, vcc, s2, v5
	s_ashr_i32 s1, s0, 31
	v_addc_co_u32_e32 v6, vcc, v27, v6, vcc
	s_lshl_b64 s[0:1], s[0:1], 3
	v_mov_b32_e32 v3, s1
	v_add_co_u32_e32 v15, vcc, s0, v1
	v_addc_co_u32_e32 v16, vcc, v2, v3, vcc
	v_add_u32_e32 v3, s6, v14
	v_lshlrev_b64 v[17:18], 3, v[3:4]
	v_mov_b32_e32 v31, s11
	v_add_co_u32_e32 v17, vcc, s10, v17
	v_addc_co_u32_e32 v18, vcc, v31, v18, vcc
	global_load_dwordx2 v[5:6], v[5:6], off
	s_add_i32 s0, s9, s6
	global_load_dwordx2 v[15:16], v[15:16], off
	s_ashr_i32 s1, s0, 31
	global_load_dwordx2 v[17:18], v[17:18], off
	v_add_u32_e32 v3, s6, v0
	s_lshl_b64 s[0:1], s[0:1], 3
	v_lshlrev_b64 v[19:20], 3, v[3:4]
	v_add_u32_e32 v3, s6, v9
	v_mov_b32_e32 v24, s1
	v_lshlrev_b64 v[21:22], 3, v[3:4]
	v_add_co_u32_e32 v23, vcc, s0, v1
	v_addc_co_u32_e32 v24, vcc, v2, v24, vcc
	v_add_co_u32_e32 v21, vcc, s2, v21
	v_addc_co_u32_e32 v22, vcc, v27, v22, vcc
	v_add_u32_e32 v3, s6, v12
	global_load_dwordx2 v[23:24], v[23:24], off
	v_lshlrev_b64 v[25:26], 3, v[3:4]
	global_load_dwordx2 v[21:22], v[21:22], off
	v_add_u32_e32 v3, s6, v7
	s_add_i32 s14, s8, s6
	s_ashr_i32 s15, s14, 31
	s_lshl_b64 s[14:15], s[14:15], 3
	v_mov_b32_e32 v28, s15
	s_cmp_eq_u32 s13, 0
	s_waitcnt vmcnt(2)
	v_fma_f64 v[5:6], -v[15:16], v[17:18], v[5:6]
	v_lshlrev_b64 v[15:16], 3, v[3:4]
	v_add_u32_e32 v3, s6, v11
	v_add_co_u32_e32 v15, vcc, s2, v15
	v_addc_co_u32_e32 v16, vcc, v27, v16, vcc
	v_add_co_u32_e32 v17, vcc, s14, v1
	v_addc_co_u32_e32 v18, vcc, v2, v28, vcc
	global_load_dwordx2 v[27:28], v[17:18], off
	global_load_dwordx2 v[29:30], v[15:16], off
	v_add_co_u32_e32 v17, vcc, s10, v19
	v_addc_co_u32_e32 v18, vcc, v31, v20, vcc
	v_add_co_u32_e32 v19, vcc, s10, v25
	s_waitcnt vmcnt(2)
	v_fma_f64 v[15:16], -v[23:24], v[5:6], v[21:22]
	v_addc_co_u32_e32 v20, vcc, v31, v26, vcc
	global_store_dwordx2 v[17:18], v[5:6], off
	global_store_dwordx2 v[19:20], v[15:16], off
	s_waitcnt vmcnt(2)
	v_fma_f64 v[5:6], -v[27:28], v[15:16], v[29:30]
	v_lshlrev_b64 v[15:16], 3, v[3:4]
	v_add_co_u32_e32 v15, vcc, s10, v15
	v_addc_co_u32_e32 v16, vcc, v31, v16, vcc
	global_store_dwordx2 v[15:16], v[5:6], off
	s_cbranch_scc0 .LBB47_6
; %bb.8:
                                        ; implicit-def: $sgpr13
                                        ; implicit-def: $sgpr6
.LBB47_9:
	s_endpgm
	.section	.rodata,"a",@progbits
	.p2align	6, 0x0
	.amdhsa_kernel _ZN9rocsparseL38gtsv_nopivot_thomas_pow2_stage2_kernelILj256ELj512EdEEviiiiPKT1_S3_S3_S3_PS1_S4_S4_S4_S4_
		.amdhsa_group_segment_fixed_size 0
		.amdhsa_private_segment_fixed_size 0
		.amdhsa_kernarg_size 88
		.amdhsa_user_sgpr_count 6
		.amdhsa_user_sgpr_private_segment_buffer 1
		.amdhsa_user_sgpr_dispatch_ptr 0
		.amdhsa_user_sgpr_queue_ptr 0
		.amdhsa_user_sgpr_kernarg_segment_ptr 1
		.amdhsa_user_sgpr_dispatch_id 0
		.amdhsa_user_sgpr_flat_scratch_init 0
		.amdhsa_user_sgpr_private_segment_size 0
		.amdhsa_uses_dynamic_stack 0
		.amdhsa_system_sgpr_private_segment_wavefront_offset 0
		.amdhsa_system_sgpr_workgroup_id_x 1
		.amdhsa_system_sgpr_workgroup_id_y 1
		.amdhsa_system_sgpr_workgroup_id_z 0
		.amdhsa_system_sgpr_workgroup_info 0
		.amdhsa_system_vgpr_workitem_id 0
		.amdhsa_next_free_vgpr 32
		.amdhsa_next_free_sgpr 24
		.amdhsa_reserve_vcc 1
		.amdhsa_reserve_flat_scratch 0
		.amdhsa_float_round_mode_32 0
		.amdhsa_float_round_mode_16_64 0
		.amdhsa_float_denorm_mode_32 3
		.amdhsa_float_denorm_mode_16_64 3
		.amdhsa_dx10_clamp 1
		.amdhsa_ieee_mode 1
		.amdhsa_fp16_overflow 0
		.amdhsa_exception_fp_ieee_invalid_op 0
		.amdhsa_exception_fp_denorm_src 0
		.amdhsa_exception_fp_ieee_div_zero 0
		.amdhsa_exception_fp_ieee_overflow 0
		.amdhsa_exception_fp_ieee_underflow 0
		.amdhsa_exception_fp_ieee_inexact 0
		.amdhsa_exception_int_div_zero 0
	.end_amdhsa_kernel
	.section	.text._ZN9rocsparseL38gtsv_nopivot_thomas_pow2_stage2_kernelILj256ELj512EdEEviiiiPKT1_S3_S3_S3_PS1_S4_S4_S4_S4_,"axG",@progbits,_ZN9rocsparseL38gtsv_nopivot_thomas_pow2_stage2_kernelILj256ELj512EdEEviiiiPKT1_S3_S3_S3_PS1_S4_S4_S4_S4_,comdat
.Lfunc_end47:
	.size	_ZN9rocsparseL38gtsv_nopivot_thomas_pow2_stage2_kernelILj256ELj512EdEEviiiiPKT1_S3_S3_S3_PS1_S4_S4_S4_S4_, .Lfunc_end47-_ZN9rocsparseL38gtsv_nopivot_thomas_pow2_stage2_kernelILj256ELj512EdEEviiiiPKT1_S3_S3_S3_PS1_S4_S4_S4_S4_
                                        ; -- End function
	.set _ZN9rocsparseL38gtsv_nopivot_thomas_pow2_stage2_kernelILj256ELj512EdEEviiiiPKT1_S3_S3_S3_PS1_S4_S4_S4_S4_.num_vgpr, 32
	.set _ZN9rocsparseL38gtsv_nopivot_thomas_pow2_stage2_kernelILj256ELj512EdEEviiiiPKT1_S3_S3_S3_PS1_S4_S4_S4_S4_.num_agpr, 0
	.set _ZN9rocsparseL38gtsv_nopivot_thomas_pow2_stage2_kernelILj256ELj512EdEEviiiiPKT1_S3_S3_S3_PS1_S4_S4_S4_S4_.numbered_sgpr, 24
	.set _ZN9rocsparseL38gtsv_nopivot_thomas_pow2_stage2_kernelILj256ELj512EdEEviiiiPKT1_S3_S3_S3_PS1_S4_S4_S4_S4_.num_named_barrier, 0
	.set _ZN9rocsparseL38gtsv_nopivot_thomas_pow2_stage2_kernelILj256ELj512EdEEviiiiPKT1_S3_S3_S3_PS1_S4_S4_S4_S4_.private_seg_size, 0
	.set _ZN9rocsparseL38gtsv_nopivot_thomas_pow2_stage2_kernelILj256ELj512EdEEviiiiPKT1_S3_S3_S3_PS1_S4_S4_S4_S4_.uses_vcc, 1
	.set _ZN9rocsparseL38gtsv_nopivot_thomas_pow2_stage2_kernelILj256ELj512EdEEviiiiPKT1_S3_S3_S3_PS1_S4_S4_S4_S4_.uses_flat_scratch, 0
	.set _ZN9rocsparseL38gtsv_nopivot_thomas_pow2_stage2_kernelILj256ELj512EdEEviiiiPKT1_S3_S3_S3_PS1_S4_S4_S4_S4_.has_dyn_sized_stack, 0
	.set _ZN9rocsparseL38gtsv_nopivot_thomas_pow2_stage2_kernelILj256ELj512EdEEviiiiPKT1_S3_S3_S3_PS1_S4_S4_S4_S4_.has_recursion, 0
	.set _ZN9rocsparseL38gtsv_nopivot_thomas_pow2_stage2_kernelILj256ELj512EdEEviiiiPKT1_S3_S3_S3_PS1_S4_S4_S4_S4_.has_indirect_call, 0
	.section	.AMDGPU.csdata,"",@progbits
; Kernel info:
; codeLenInByte = 1720
; TotalNumSgprs: 28
; NumVgprs: 32
; ScratchSize: 0
; MemoryBound: 0
; FloatMode: 240
; IeeeMode: 1
; LDSByteSize: 0 bytes/workgroup (compile time only)
; SGPRBlocks: 3
; VGPRBlocks: 7
; NumSGPRsForWavesPerEU: 28
; NumVGPRsForWavesPerEU: 32
; Occupancy: 8
; WaveLimiterHint : 0
; COMPUTE_PGM_RSRC2:SCRATCH_EN: 0
; COMPUTE_PGM_RSRC2:USER_SGPR: 6
; COMPUTE_PGM_RSRC2:TRAP_HANDLER: 0
; COMPUTE_PGM_RSRC2:TGID_X_EN: 1
; COMPUTE_PGM_RSRC2:TGID_Y_EN: 1
; COMPUTE_PGM_RSRC2:TGID_Z_EN: 0
; COMPUTE_PGM_RSRC2:TIDIG_COMP_CNT: 0
	.section	.text._ZN9rocsparseL30gtsv_nopivot_pcr_stage1_kernelILj256EdEEviiiiPKT0_S3_S3_S3_PS1_S4_S4_S4_,"axG",@progbits,_ZN9rocsparseL30gtsv_nopivot_pcr_stage1_kernelILj256EdEEviiiiPKT0_S3_S3_S3_PS1_S4_S4_S4_,comdat
	.globl	_ZN9rocsparseL30gtsv_nopivot_pcr_stage1_kernelILj256EdEEviiiiPKT0_S3_S3_S3_PS1_S4_S4_S4_ ; -- Begin function _ZN9rocsparseL30gtsv_nopivot_pcr_stage1_kernelILj256EdEEviiiiPKT0_S3_S3_S3_PS1_S4_S4_S4_
	.p2align	8
	.type	_ZN9rocsparseL30gtsv_nopivot_pcr_stage1_kernelILj256EdEEviiiiPKT0_S3_S3_S3_PS1_S4_S4_S4_,@function
_ZN9rocsparseL30gtsv_nopivot_pcr_stage1_kernelILj256EdEEviiiiPKT0_S3_S3_S3_PS1_S4_S4_S4_: ; @_ZN9rocsparseL30gtsv_nopivot_pcr_stage1_kernelILj256EdEEviiiiPKT0_S3_S3_S3_PS1_S4_S4_S4_
; %bb.0:
	s_load_dwordx4 s[8:11], s[4:5], 0x0
	v_lshl_or_b32 v0, s6, 8, v0
	s_waitcnt lgkmcnt(0)
	v_cmp_gt_i32_e32 vcc, s9, v0
	s_and_saveexec_b64 s[0:1], vcc
	s_cbranch_execz .LBB48_4
; %bb.1:
	v_add_u32_e32 v1, s8, v0
	s_add_i32 s18, s9, -1
	v_min_i32_e32 v6, s18, v1
	v_subrev_u32_e32 v1, s8, v0
	s_load_dwordx2 s[6:7], s[4:5], 0x40
	s_load_dwordx4 s[12:15], s[4:5], 0x10
	s_load_dwordx2 s[16:17], s[4:5], 0x20
	s_load_dwordx4 s[0:3], s[4:5], 0x30
	v_max_i32_e32 v2, 0, v1
	v_ashrrev_i32_e32 v1, 31, v0
	v_lshlrev_b64 v[0:1], 3, v[0:1]
	s_waitcnt lgkmcnt(0)
	v_mov_b32_e32 v4, s13
	v_add_co_u32_e32 v3, vcc, s12, v0
	v_addc_co_u32_e32 v4, vcc, v4, v1, vcc
	global_load_dwordx2 v[4:5], v[3:4], off
	v_mov_b32_e32 v3, 0
	v_lshlrev_b64 v[2:3], 3, v[2:3]
	v_mov_b32_e32 v8, s15
	v_add_co_u32_e32 v7, vcc, s14, v2
	v_addc_co_u32_e32 v8, vcc, v8, v3, vcc
	global_load_dwordx2 v[7:8], v[7:8], off
	s_cmp_lt_i32 s10, 1
	s_waitcnt vmcnt(0)
	v_div_scale_f64 v[9:10], s[18:19], v[7:8], v[7:8], v[4:5]
	v_rcp_f64_e32 v[11:12], v[9:10]
	v_fma_f64 v[13:14], -v[9:10], v[11:12], 1.0
	v_fma_f64 v[11:12], v[11:12], v[13:14], v[11:12]
	v_fma_f64 v[13:14], -v[9:10], v[11:12], 1.0
	v_fma_f64 v[11:12], v[11:12], v[13:14], v[11:12]
	v_div_scale_f64 v[13:14], vcc, v[4:5], v[7:8], v[4:5]
	v_mul_f64 v[15:16], v[13:14], v[11:12]
	v_fma_f64 v[9:10], -v[9:10], v[15:16], v[13:14]
	s_nop 1
	v_div_fmas_f64 v[9:10], v[9:10], v[11:12], v[15:16]
	v_mov_b32_e32 v11, s15
	v_div_fixup_f64 v[4:5], v[9:10], v[7:8], v[4:5]
	v_add_co_u32_e32 v7, vcc, s16, v0
	v_mov_b32_e32 v8, s17
	v_addc_co_u32_e32 v8, vcc, v8, v1, vcc
	global_load_dwordx2 v[8:9], v[7:8], off
	v_ashrrev_i32_e32 v7, 31, v6
	v_lshlrev_b64 v[6:7], 3, v[6:7]
	v_add_co_u32_e32 v10, vcc, s14, v6
	v_addc_co_u32_e32 v11, vcc, v11, v7, vcc
	global_load_dwordx2 v[10:11], v[10:11], off
	s_waitcnt vmcnt(0)
	v_div_scale_f64 v[12:13], s[18:19], v[10:11], v[10:11], v[8:9]
	v_rcp_f64_e32 v[14:15], v[12:13]
	v_fma_f64 v[16:17], -v[12:13], v[14:15], 1.0
	v_fma_f64 v[14:15], v[14:15], v[16:17], v[14:15]
	v_fma_f64 v[16:17], -v[12:13], v[14:15], 1.0
	v_fma_f64 v[14:15], v[14:15], v[16:17], v[14:15]
	v_div_scale_f64 v[16:17], vcc, v[8:9], v[10:11], v[8:9]
	v_mul_f64 v[18:19], v[16:17], v[14:15]
	v_fma_f64 v[12:13], -v[12:13], v[18:19], v[16:17]
	v_mov_b32_e32 v17, s17
	s_nop 0
	v_div_fmas_f64 v[12:13], v[12:13], v[14:15], v[18:19]
	v_mov_b32_e32 v15, s15
	v_div_fixup_f64 v[8:9], v[12:13], v[10:11], v[8:9]
	v_add_co_u32_e32 v10, vcc, s12, v2
	v_mov_b32_e32 v11, s13
	v_addc_co_u32_e32 v11, vcc, v11, v3, vcc
	v_add_co_u32_e32 v12, vcc, s16, v6
	v_mov_b32_e32 v13, s17
	v_addc_co_u32_e32 v13, vcc, v13, v7, vcc
	v_add_co_u32_e32 v14, vcc, s14, v0
	v_addc_co_u32_e32 v15, vcc, v15, v1, vcc
	v_add_co_u32_e32 v16, vcc, s16, v2
	v_addc_co_u32_e32 v17, vcc, v17, v3, vcc
	global_load_dwordx2 v[14:15], v[14:15], off
	s_nop 0
	global_load_dwordx2 v[16:17], v[16:17], off
	s_waitcnt vmcnt(0)
	v_fma_f64 v[14:15], -v[4:5], v[16:17], v[14:15]
	v_add_co_u32_e32 v16, vcc, s12, v6
	v_mov_b32_e32 v17, s13
	v_addc_co_u32_e32 v17, vcc, v17, v7, vcc
	global_load_dwordx2 v[16:17], v[16:17], off
	s_waitcnt vmcnt(0)
	v_fma_f64 v[14:15], -v[8:9], v[16:17], v[14:15]
	global_load_dwordx2 v[10:11], v[10:11], off
	v_add_co_u32_e32 v16, vcc, s2, v0
	global_load_dwordx2 v[12:13], v[12:13], off
	v_mov_b32_e32 v17, s3
	v_addc_co_u32_e32 v17, vcc, v17, v1, vcc
	global_store_dwordx2 v[16:17], v[14:15], off
	v_add_co_u32_e32 v14, vcc, s0, v0
	v_mov_b32_e32 v15, s1
	v_addc_co_u32_e32 v15, vcc, v15, v1, vcc
	s_waitcnt vmcnt(2)
	v_mul_f64 v[10:11], v[4:5], -v[10:11]
	global_store_dwordx2 v[14:15], v[10:11], off
	s_waitcnt vmcnt(2)
	v_mul_f64 v[10:11], v[8:9], -v[12:13]
	v_add_co_u32_e32 v12, vcc, s6, v0
	v_mov_b32_e32 v13, s7
	v_addc_co_u32_e32 v13, vcc, v13, v1, vcc
	global_store_dwordx2 v[12:13], v[10:11], off
	s_cbranch_scc1 .LBB48_4
; %bb.2:
	s_load_dwordx2 s[0:1], s[4:5], 0x48
	s_load_dwordx2 s[6:7], s[4:5], 0x28
	s_waitcnt lgkmcnt(0)
	v_mov_b32_e32 v11, s1
	v_add_co_u32_e32 v10, vcc, s0, v0
	s_ashr_i32 s1, s9, 31
	s_mov_b32 s0, s9
	s_lshl_b64 s[4:5], s[0:1], 3
	s_ashr_i32 s1, s11, 31
	s_mov_b32 s0, s11
	v_addc_co_u32_e32 v11, vcc, v11, v1, vcc
	s_lshl_b64 s[8:9], s[0:1], 3
.LBB48_3:                               ; =>This Inner Loop Header: Depth=1
	v_mov_b32_e32 v15, s7
	v_add_co_u32_e32 v12, vcc, s6, v2
	v_add_co_u32_e64 v14, s[0:1], s6, v0
	v_add_co_u32_e64 v16, s[2:3], s6, v6
	v_addc_co_u32_e32 v13, vcc, v15, v3, vcc
	v_addc_co_u32_e64 v17, s[2:3], v15, v7, s[2:3]
	v_addc_co_u32_e64 v15, vcc, v15, v1, s[0:1]
	global_load_dwordx2 v[18:19], v[12:13], off
	global_load_dwordx2 v[20:21], v[14:15], off
	;; [unrolled: 1-line block ×3, first 2 shown]
	s_add_i32 s10, s10, -1
	s_add_u32 s6, s6, s8
	v_mov_b32_e32 v14, s5
	s_addc_u32 s7, s7, s9
	s_cmp_lg_u32 s10, 0
	s_waitcnt vmcnt(1)
	v_fma_f64 v[12:13], -v[4:5], v[18:19], v[20:21]
	s_waitcnt vmcnt(0)
	v_fma_f64 v[12:13], -v[8:9], v[22:23], v[12:13]
	global_store_dwordx2 v[10:11], v[12:13], off
	v_add_co_u32_e32 v10, vcc, s4, v10
	v_addc_co_u32_e32 v11, vcc, v11, v14, vcc
	s_cbranch_scc1 .LBB48_3
.LBB48_4:
	s_endpgm
	.section	.rodata,"a",@progbits
	.p2align	6, 0x0
	.amdhsa_kernel _ZN9rocsparseL30gtsv_nopivot_pcr_stage1_kernelILj256EdEEviiiiPKT0_S3_S3_S3_PS1_S4_S4_S4_
		.amdhsa_group_segment_fixed_size 0
		.amdhsa_private_segment_fixed_size 0
		.amdhsa_kernarg_size 80
		.amdhsa_user_sgpr_count 6
		.amdhsa_user_sgpr_private_segment_buffer 1
		.amdhsa_user_sgpr_dispatch_ptr 0
		.amdhsa_user_sgpr_queue_ptr 0
		.amdhsa_user_sgpr_kernarg_segment_ptr 1
		.amdhsa_user_sgpr_dispatch_id 0
		.amdhsa_user_sgpr_flat_scratch_init 0
		.amdhsa_user_sgpr_private_segment_size 0
		.amdhsa_uses_dynamic_stack 0
		.amdhsa_system_sgpr_private_segment_wavefront_offset 0
		.amdhsa_system_sgpr_workgroup_id_x 1
		.amdhsa_system_sgpr_workgroup_id_y 0
		.amdhsa_system_sgpr_workgroup_id_z 0
		.amdhsa_system_sgpr_workgroup_info 0
		.amdhsa_system_vgpr_workitem_id 0
		.amdhsa_next_free_vgpr 24
		.amdhsa_next_free_sgpr 20
		.amdhsa_reserve_vcc 1
		.amdhsa_reserve_flat_scratch 0
		.amdhsa_float_round_mode_32 0
		.amdhsa_float_round_mode_16_64 0
		.amdhsa_float_denorm_mode_32 3
		.amdhsa_float_denorm_mode_16_64 3
		.amdhsa_dx10_clamp 1
		.amdhsa_ieee_mode 1
		.amdhsa_fp16_overflow 0
		.amdhsa_exception_fp_ieee_invalid_op 0
		.amdhsa_exception_fp_denorm_src 0
		.amdhsa_exception_fp_ieee_div_zero 0
		.amdhsa_exception_fp_ieee_overflow 0
		.amdhsa_exception_fp_ieee_underflow 0
		.amdhsa_exception_fp_ieee_inexact 0
		.amdhsa_exception_int_div_zero 0
	.end_amdhsa_kernel
	.section	.text._ZN9rocsparseL30gtsv_nopivot_pcr_stage1_kernelILj256EdEEviiiiPKT0_S3_S3_S3_PS1_S4_S4_S4_,"axG",@progbits,_ZN9rocsparseL30gtsv_nopivot_pcr_stage1_kernelILj256EdEEviiiiPKT0_S3_S3_S3_PS1_S4_S4_S4_,comdat
.Lfunc_end48:
	.size	_ZN9rocsparseL30gtsv_nopivot_pcr_stage1_kernelILj256EdEEviiiiPKT0_S3_S3_S3_PS1_S4_S4_S4_, .Lfunc_end48-_ZN9rocsparseL30gtsv_nopivot_pcr_stage1_kernelILj256EdEEviiiiPKT0_S3_S3_S3_PS1_S4_S4_S4_
                                        ; -- End function
	.set _ZN9rocsparseL30gtsv_nopivot_pcr_stage1_kernelILj256EdEEviiiiPKT0_S3_S3_S3_PS1_S4_S4_S4_.num_vgpr, 24
	.set _ZN9rocsparseL30gtsv_nopivot_pcr_stage1_kernelILj256EdEEviiiiPKT0_S3_S3_S3_PS1_S4_S4_S4_.num_agpr, 0
	.set _ZN9rocsparseL30gtsv_nopivot_pcr_stage1_kernelILj256EdEEviiiiPKT0_S3_S3_S3_PS1_S4_S4_S4_.numbered_sgpr, 20
	.set _ZN9rocsparseL30gtsv_nopivot_pcr_stage1_kernelILj256EdEEviiiiPKT0_S3_S3_S3_PS1_S4_S4_S4_.num_named_barrier, 0
	.set _ZN9rocsparseL30gtsv_nopivot_pcr_stage1_kernelILj256EdEEviiiiPKT0_S3_S3_S3_PS1_S4_S4_S4_.private_seg_size, 0
	.set _ZN9rocsparseL30gtsv_nopivot_pcr_stage1_kernelILj256EdEEviiiiPKT0_S3_S3_S3_PS1_S4_S4_S4_.uses_vcc, 1
	.set _ZN9rocsparseL30gtsv_nopivot_pcr_stage1_kernelILj256EdEEviiiiPKT0_S3_S3_S3_PS1_S4_S4_S4_.uses_flat_scratch, 0
	.set _ZN9rocsparseL30gtsv_nopivot_pcr_stage1_kernelILj256EdEEviiiiPKT0_S3_S3_S3_PS1_S4_S4_S4_.has_dyn_sized_stack, 0
	.set _ZN9rocsparseL30gtsv_nopivot_pcr_stage1_kernelILj256EdEEviiiiPKT0_S3_S3_S3_PS1_S4_S4_S4_.has_recursion, 0
	.set _ZN9rocsparseL30gtsv_nopivot_pcr_stage1_kernelILj256EdEEviiiiPKT0_S3_S3_S3_PS1_S4_S4_S4_.has_indirect_call, 0
	.section	.AMDGPU.csdata,"",@progbits
; Kernel info:
; codeLenInByte = 800
; TotalNumSgprs: 24
; NumVgprs: 24
; ScratchSize: 0
; MemoryBound: 0
; FloatMode: 240
; IeeeMode: 1
; LDSByteSize: 0 bytes/workgroup (compile time only)
; SGPRBlocks: 2
; VGPRBlocks: 5
; NumSGPRsForWavesPerEU: 24
; NumVGPRsForWavesPerEU: 24
; Occupancy: 10
; WaveLimiterHint : 0
; COMPUTE_PGM_RSRC2:SCRATCH_EN: 0
; COMPUTE_PGM_RSRC2:USER_SGPR: 6
; COMPUTE_PGM_RSRC2:TRAP_HANDLER: 0
; COMPUTE_PGM_RSRC2:TGID_X_EN: 1
; COMPUTE_PGM_RSRC2:TGID_Y_EN: 0
; COMPUTE_PGM_RSRC2:TGID_Z_EN: 0
; COMPUTE_PGM_RSRC2:TIDIG_COMP_CNT: 0
	.section	.text._ZN9rocsparseL33gtsv_nopivot_thomas_stage2_kernelILj256EdEEviiiiPKT0_S3_S3_S3_PS1_S4_S4_S4_S4_,"axG",@progbits,_ZN9rocsparseL33gtsv_nopivot_thomas_stage2_kernelILj256EdEEviiiiPKT0_S3_S3_S3_PS1_S4_S4_S4_S4_,comdat
	.globl	_ZN9rocsparseL33gtsv_nopivot_thomas_stage2_kernelILj256EdEEviiiiPKT0_S3_S3_S3_PS1_S4_S4_S4_S4_ ; -- Begin function _ZN9rocsparseL33gtsv_nopivot_thomas_stage2_kernelILj256EdEEviiiiPKT0_S3_S3_S3_PS1_S4_S4_S4_S4_
	.p2align	8
	.type	_ZN9rocsparseL33gtsv_nopivot_thomas_stage2_kernelILj256EdEEviiiiPKT0_S3_S3_S3_PS1_S4_S4_S4_S4_,@function
_ZN9rocsparseL33gtsv_nopivot_thomas_stage2_kernelILj256EdEEviiiiPKT0_S3_S3_S3_PS1_S4_S4_S4_S4_: ; @_ZN9rocsparseL33gtsv_nopivot_thomas_stage2_kernelILj256EdEEviiiiPKT0_S3_S3_S3_PS1_S4_S4_S4_S4_
; %bb.0:
	s_load_dwordx2 s[8:9], s[4:5], 0x0
	s_lshl_b32 s6, s6, 8
	v_or_b32_e32 v1, s6, v0
	s_waitcnt lgkmcnt(0)
	v_cmp_gt_i32_e32 vcc, s8, v1
	s_and_saveexec_b64 s[0:1], vcc
	s_cbranch_execz .LBB49_7
; %bb.1:
	s_load_dwordx4 s[0:3], s[4:5], 0x18
	s_load_dwordx2 s[12:13], s[4:5], 0x28
	v_ashrrev_i32_e32 v2, 31, v1
	v_lshlrev_b64 v[2:3], 3, v[1:2]
	s_mul_i32 s20, s9, s7
	s_waitcnt lgkmcnt(0)
	v_mov_b32_e32 v5, s3
	v_add_co_u32_e32 v4, vcc, s2, v2
	v_addc_co_u32_e32 v5, vcc, v5, v3, vcc
	v_mov_b32_e32 v7, s1
	v_add_co_u32_e32 v6, vcc, s0, v2
	v_addc_co_u32_e32 v7, vcc, v7, v3, vcc
	global_load_dwordx2 v[10:11], v[4:5], off
	global_load_dwordx2 v[13:14], v[6:7], off
	v_mov_b32_e32 v9, 0
	v_add_u32_e32 v8, s20, v1
	v_lshlrev_b64 v[15:16], 3, v[8:9]
	v_mov_b32_e32 v8, s13
	v_add_co_u32_e32 v17, vcc, s12, v15
	v_addc_co_u32_e32 v18, vcc, v8, v16, vcc
	global_load_dwordx2 v[17:18], v[17:18], off
	s_abs_i32 s14, s8
	v_cvt_f32_u32_e32 v8, s14
	s_sub_i32 s15, 0, s14
	v_xad_u32 v12, v1, -1, s9
	s_mov_b32 s9, 0
	v_rcp_iflag_f32_e32 v8, v8
	v_mul_f32_e32 v8, 0x4f7ffffe, v8
	v_cvt_u32_f32_e32 v8, v8
	s_waitcnt vmcnt(1)
	v_div_scale_f64 v[19:20], s[0:1], v[13:14], v[13:14], v[10:11]
	v_div_scale_f64 v[25:26], vcc, v[10:11], v[13:14], v[10:11]
	v_rcp_f64_e32 v[21:22], v[19:20]
	v_fma_f64 v[23:24], -v[19:20], v[21:22], 1.0
	v_fma_f64 v[21:22], v[21:22], v[23:24], v[21:22]
	v_fma_f64 v[23:24], -v[19:20], v[21:22], 1.0
	v_fma_f64 v[21:22], v[21:22], v[23:24], v[21:22]
	s_waitcnt vmcnt(0)
	v_div_scale_f64 v[23:24], s[0:1], v[13:14], v[13:14], v[17:18]
	s_load_dwordx4 s[0:3], s[4:5], 0x40
	s_load_dwordx2 s[10:11], s[4:5], 0x50
	v_mul_f64 v[27:28], v[25:26], v[21:22]
	v_fma_f64 v[19:20], -v[19:20], v[27:28], v[25:26]
	v_rcp_f64_e32 v[25:26], v[23:24]
	v_div_fmas_f64 v[19:20], v[19:20], v[21:22], v[27:28]
	v_div_scale_f64 v[21:22], vcc, v[17:18], v[13:14], v[17:18]
	v_fma_f64 v[29:30], -v[23:24], v[25:26], 1.0
	v_div_fixup_f64 v[10:11], v[19:20], v[13:14], v[10:11]
	v_fma_f64 v[25:26], v[25:26], v[29:30], v[25:26]
	v_fma_f64 v[27:28], -v[23:24], v[25:26], 1.0
	v_fma_f64 v[25:26], v[25:26], v[27:28], v[25:26]
	v_mul_f64 v[27:28], v[21:22], v[25:26]
	v_fma_f64 v[21:22], -v[23:24], v[27:28], v[21:22]
	v_mul_lo_u32 v24, s15, v8
	s_waitcnt lgkmcnt(0)
	v_mov_b32_e32 v23, s3
	v_div_fmas_f64 v[21:22], v[21:22], v[25:26], v[27:28]
	v_add_co_u32_e32 v15, vcc, s2, v15
	v_addc_co_u32_e32 v16, vcc, v23, v16, vcc
	v_mul_hi_u32 v23, v8, v24
	v_sub_u32_e32 v24, 0, v12
	v_max_i32_e32 v24, v12, v24
	v_mov_b32_e32 v25, s1
	v_add_u32_e32 v8, v8, v23
	v_mul_hi_u32 v8, v24, v8
	v_add_co_u32_e32 v2, vcc, s0, v2
	v_addc_co_u32_e32 v3, vcc, v25, v3, vcc
	v_mul_lo_u32 v23, v8, s14
	v_add_u32_e32 v25, 1, v8
	v_div_fixup_f64 v[17:18], v[21:22], v[13:14], v[17:18]
	v_xor_b32_e32 v12, s8, v12
	v_sub_u32_e32 v23, v24, v23
	v_subrev_u32_e32 v24, s14, v23
	v_cmp_le_u32_e32 vcc, s14, v23
	v_cndmask_b32_e32 v8, v8, v25, vcc
	v_cndmask_b32_e32 v13, v23, v24, vcc
	v_add_u32_e32 v14, 1, v8
	v_cmp_le_u32_e32 vcc, s14, v13
	v_ashrrev_i32_e32 v12, 31, v12
	v_cndmask_b32_e32 v8, v8, v14, vcc
	v_xor_b32_e32 v13, v8, v12
	v_sub_u32_e32 v14, v13, v12
	v_cmp_lt_i32_e32 vcc, 0, v14
	global_store_dwordx2 v[2:3], v[10:11], off
	global_store_dwordx2 v[15:16], v[17:18], off
	s_and_saveexec_b64 s[0:1], vcc
	s_cbranch_execz .LBB49_4
; %bb.2:
	s_load_dwordx2 s[14:15], s[4:5], 0x10
	s_add_i32 s16, s6, s20
	v_add_u32_e32 v15, s16, v0
	v_add_u32_e32 v16, s8, v1
	;; [unrolled: 1-line block ×3, first 2 shown]
	s_mov_b64 s[16:17], 0
	v_mov_b32_e32 v18, v14
.LBB49_3:                               ; =>This Inner Loop Header: Depth=1
	s_add_i32 s18, s8, s9
	v_add_u32_e32 v19, s9, v16
	s_ashr_i32 s19, s18, 31
	v_ashrrev_i32_e32 v20, 31, v19
	s_lshl_b64 s[22:23], s[18:19], 3
	v_add_co_u32_e32 v21, vcc, s22, v6
	v_mov_b32_e32 v8, s23
	v_lshlrev_b64 v[19:20], 3, v[19:20]
	v_addc_co_u32_e32 v22, vcc, v7, v8, vcc
	s_waitcnt lgkmcnt(0)
	v_add_co_u32_e32 v19, vcc, s14, v19
	v_mov_b32_e32 v23, s15
	v_addc_co_u32_e32 v20, vcc, v23, v20, vcc
	global_load_dwordx2 v[21:22], v[21:22], off
	v_add_u32_e32 v18, -1, v18
	global_load_dwordx2 v[19:20], v[19:20], off
	s_waitcnt vmcnt(0)
	v_fma_f64 v[10:11], -v[10:11], v[19:20], v[21:22]
	v_div_scale_f64 v[21:22], s[24:25], v[10:11], v[10:11], 1.0
	v_rcp_f64_e32 v[23:24], v[21:22]
	v_fma_f64 v[25:26], -v[21:22], v[23:24], 1.0
	v_fma_f64 v[23:24], v[23:24], v[25:26], v[23:24]
	v_fma_f64 v[25:26], -v[21:22], v[23:24], 1.0
	v_fma_f64 v[23:24], v[23:24], v[25:26], v[23:24]
	v_div_scale_f64 v[25:26], vcc, 1.0, v[10:11], 1.0
	v_mul_f64 v[27:28], v[25:26], v[23:24]
	v_fma_f64 v[21:22], -v[21:22], v[27:28], v[25:26]
	s_nop 1
	v_div_fmas_f64 v[21:22], v[21:22], v[23:24], v[27:28]
	v_div_fixup_f64 v[21:22], v[21:22], v[10:11], 1.0
	v_add_co_u32_e32 v10, vcc, s22, v4
	v_addc_co_u32_e32 v11, vcc, v5, v8, vcc
	global_load_dwordx2 v[10:11], v[10:11], off
	v_add_co_u32_e32 v23, vcc, s22, v2
	v_addc_co_u32_e32 v24, vcc, v3, v8, vcc
	v_add_u32_e32 v8, s9, v17
	s_waitcnt vmcnt(0)
	v_mul_f64 v[10:11], v[10:11], v[21:22]
	global_store_dwordx2 v[23:24], v[10:11], off
	v_lshlrev_b64 v[23:24], 3, v[8:9]
	v_mov_b32_e32 v8, s13
	v_add_co_u32_e32 v25, vcc, s12, v23
	v_addc_co_u32_e32 v26, vcc, v8, v24, vcc
	v_add_u32_e32 v8, s9, v15
	v_lshlrev_b64 v[27:28], 3, v[8:9]
	v_mov_b32_e32 v8, s3
	v_add_co_u32_e32 v27, vcc, s2, v27
	v_addc_co_u32_e32 v28, vcc, v8, v28, vcc
	global_load_dwordx2 v[25:26], v[25:26], off
	s_mov_b32 s9, s18
	global_load_dwordx2 v[27:28], v[27:28], off
	s_waitcnt vmcnt(0)
	v_fma_f64 v[19:20], -v[19:20], v[27:28], v[25:26]
	v_mul_f64 v[19:20], v[21:22], v[19:20]
	v_add_co_u32_e32 v21, vcc, s2, v23
	v_addc_co_u32_e32 v22, vcc, v8, v24, vcc
	v_cmp_eq_u32_e32 vcc, 0, v18
	s_or_b64 s[16:17], vcc, s[16:17]
	global_store_dwordx2 v[21:22], v[19:20], off
	s_andn2_b64 exec, exec, s[16:17]
	s_cbranch_execnz .LBB49_3
.LBB49_4:
	s_or_b64 exec, exec, s[0:1]
	v_mul_lo_u32 v8, v14, s8
	v_mov_b32_e32 v5, 0
	v_mov_b32_e32 v9, s3
	s_load_dword s0, s[4:5], 0xc
	v_add_u32_e32 v1, v8, v1
	v_add_u32_e32 v4, s20, v1
	v_lshlrev_b64 v[6:7], 3, v[4:5]
	v_mov_b32_e32 v11, s11
	v_add_co_u32_e32 v6, vcc, s2, v6
	v_addc_co_u32_e32 v7, vcc, v9, v7, vcc
	global_load_dwordx2 v[6:7], v[6:7], off
	s_waitcnt lgkmcnt(0)
	s_mul_i32 s0, s0, s7
	v_add_u32_e32 v4, s0, v1
	v_lshlrev_b64 v[9:10], 3, v[4:5]
	v_add_co_u32_e32 v9, vcc, s10, v9
	v_addc_co_u32_e32 v10, vcc, v11, v10, vcc
	v_cmp_lt_i32_e32 vcc, 0, v14
	s_waitcnt vmcnt(0)
	global_store_dwordx2 v[9:10], v[6:7], off
	s_and_b64 exec, exec, vcc
	s_cbranch_execz .LBB49_7
; %bb.5:
	v_xad_u32 v4, v12, -1, v13
	v_mul_lo_u32 v6, s8, v4
	v_sub_u32_e32 v1, v13, v12
	s_add_i32 s1, s6, s20
	s_add_i32 s6, s6, s0
	v_add_u32_e32 v1, 1, v1
	v_add_u32_e32 v9, s1, v0
	;; [unrolled: 1-line block ×3, first 2 shown]
	s_mov_b64 s[0:1], 0
	v_mov_b32_e32 v10, s3
	v_mov_b32_e32 v11, s11
.LBB49_6:                               ; =>This Inner Loop Header: Depth=1
	v_add_u32_e32 v4, v9, v6
	v_lshlrev_b64 v[12:13], 3, v[4:5]
	v_ashrrev_i32_e32 v7, 31, v6
	v_lshlrev_b64 v[14:15], 3, v[6:7]
	v_add_co_u32_e32 v12, vcc, s2, v12
	v_add_u32_e32 v4, v0, v8
	v_addc_co_u32_e32 v13, vcc, v10, v13, vcc
	v_lshlrev_b64 v[16:17], 3, v[4:5]
	v_add_co_u32_e32 v14, vcc, v2, v14
	v_addc_co_u32_e32 v15, vcc, v3, v15, vcc
	global_load_dwordx2 v[18:19], v[12:13], off
	global_load_dwordx2 v[20:21], v[14:15], off
	v_add_co_u32_e32 v12, vcc, s10, v16
	v_addc_co_u32_e32 v13, vcc, v11, v17, vcc
	global_load_dwordx2 v[12:13], v[12:13], off
	v_add_u32_e32 v4, v0, v6
	v_add_u32_e32 v1, -1, v1
	v_lshlrev_b64 v[14:15], 3, v[4:5]
	v_cmp_gt_u32_e32 vcc, 2, v1
	s_or_b64 s[0:1], vcc, s[0:1]
	v_add_co_u32_e32 v14, vcc, s10, v14
	v_subrev_u32_e32 v8, s8, v8
	v_subrev_u32_e32 v6, s8, v6
	v_addc_co_u32_e32 v15, vcc, v11, v15, vcc
	s_waitcnt vmcnt(0)
	v_fma_f64 v[12:13], -v[20:21], v[12:13], v[18:19]
	global_store_dwordx2 v[14:15], v[12:13], off
	s_andn2_b64 exec, exec, s[0:1]
	s_cbranch_execnz .LBB49_6
.LBB49_7:
	s_endpgm
	.section	.rodata,"a",@progbits
	.p2align	6, 0x0
	.amdhsa_kernel _ZN9rocsparseL33gtsv_nopivot_thomas_stage2_kernelILj256EdEEviiiiPKT0_S3_S3_S3_PS1_S4_S4_S4_S4_
		.amdhsa_group_segment_fixed_size 0
		.amdhsa_private_segment_fixed_size 0
		.amdhsa_kernarg_size 88
		.amdhsa_user_sgpr_count 6
		.amdhsa_user_sgpr_private_segment_buffer 1
		.amdhsa_user_sgpr_dispatch_ptr 0
		.amdhsa_user_sgpr_queue_ptr 0
		.amdhsa_user_sgpr_kernarg_segment_ptr 1
		.amdhsa_user_sgpr_dispatch_id 0
		.amdhsa_user_sgpr_flat_scratch_init 0
		.amdhsa_user_sgpr_private_segment_size 0
		.amdhsa_uses_dynamic_stack 0
		.amdhsa_system_sgpr_private_segment_wavefront_offset 0
		.amdhsa_system_sgpr_workgroup_id_x 1
		.amdhsa_system_sgpr_workgroup_id_y 1
		.amdhsa_system_sgpr_workgroup_id_z 0
		.amdhsa_system_sgpr_workgroup_info 0
		.amdhsa_system_vgpr_workitem_id 0
		.amdhsa_next_free_vgpr 31
		.amdhsa_next_free_sgpr 26
		.amdhsa_reserve_vcc 1
		.amdhsa_reserve_flat_scratch 0
		.amdhsa_float_round_mode_32 0
		.amdhsa_float_round_mode_16_64 0
		.amdhsa_float_denorm_mode_32 3
		.amdhsa_float_denorm_mode_16_64 3
		.amdhsa_dx10_clamp 1
		.amdhsa_ieee_mode 1
		.amdhsa_fp16_overflow 0
		.amdhsa_exception_fp_ieee_invalid_op 0
		.amdhsa_exception_fp_denorm_src 0
		.amdhsa_exception_fp_ieee_div_zero 0
		.amdhsa_exception_fp_ieee_overflow 0
		.amdhsa_exception_fp_ieee_underflow 0
		.amdhsa_exception_fp_ieee_inexact 0
		.amdhsa_exception_int_div_zero 0
	.end_amdhsa_kernel
	.section	.text._ZN9rocsparseL33gtsv_nopivot_thomas_stage2_kernelILj256EdEEviiiiPKT0_S3_S3_S3_PS1_S4_S4_S4_S4_,"axG",@progbits,_ZN9rocsparseL33gtsv_nopivot_thomas_stage2_kernelILj256EdEEviiiiPKT0_S3_S3_S3_PS1_S4_S4_S4_S4_,comdat
.Lfunc_end49:
	.size	_ZN9rocsparseL33gtsv_nopivot_thomas_stage2_kernelILj256EdEEviiiiPKT0_S3_S3_S3_PS1_S4_S4_S4_S4_, .Lfunc_end49-_ZN9rocsparseL33gtsv_nopivot_thomas_stage2_kernelILj256EdEEviiiiPKT0_S3_S3_S3_PS1_S4_S4_S4_S4_
                                        ; -- End function
	.set _ZN9rocsparseL33gtsv_nopivot_thomas_stage2_kernelILj256EdEEviiiiPKT0_S3_S3_S3_PS1_S4_S4_S4_S4_.num_vgpr, 31
	.set _ZN9rocsparseL33gtsv_nopivot_thomas_stage2_kernelILj256EdEEviiiiPKT0_S3_S3_S3_PS1_S4_S4_S4_S4_.num_agpr, 0
	.set _ZN9rocsparseL33gtsv_nopivot_thomas_stage2_kernelILj256EdEEviiiiPKT0_S3_S3_S3_PS1_S4_S4_S4_S4_.numbered_sgpr, 26
	.set _ZN9rocsparseL33gtsv_nopivot_thomas_stage2_kernelILj256EdEEviiiiPKT0_S3_S3_S3_PS1_S4_S4_S4_S4_.num_named_barrier, 0
	.set _ZN9rocsparseL33gtsv_nopivot_thomas_stage2_kernelILj256EdEEviiiiPKT0_S3_S3_S3_PS1_S4_S4_S4_S4_.private_seg_size, 0
	.set _ZN9rocsparseL33gtsv_nopivot_thomas_stage2_kernelILj256EdEEviiiiPKT0_S3_S3_S3_PS1_S4_S4_S4_S4_.uses_vcc, 1
	.set _ZN9rocsparseL33gtsv_nopivot_thomas_stage2_kernelILj256EdEEviiiiPKT0_S3_S3_S3_PS1_S4_S4_S4_S4_.uses_flat_scratch, 0
	.set _ZN9rocsparseL33gtsv_nopivot_thomas_stage2_kernelILj256EdEEviiiiPKT0_S3_S3_S3_PS1_S4_S4_S4_S4_.has_dyn_sized_stack, 0
	.set _ZN9rocsparseL33gtsv_nopivot_thomas_stage2_kernelILj256EdEEviiiiPKT0_S3_S3_S3_PS1_S4_S4_S4_S4_.has_recursion, 0
	.set _ZN9rocsparseL33gtsv_nopivot_thomas_stage2_kernelILj256EdEEviiiiPKT0_S3_S3_S3_PS1_S4_S4_S4_S4_.has_indirect_call, 0
	.section	.AMDGPU.csdata,"",@progbits
; Kernel info:
; codeLenInByte = 1224
; TotalNumSgprs: 30
; NumVgprs: 31
; ScratchSize: 0
; MemoryBound: 0
; FloatMode: 240
; IeeeMode: 1
; LDSByteSize: 0 bytes/workgroup (compile time only)
; SGPRBlocks: 3
; VGPRBlocks: 7
; NumSGPRsForWavesPerEU: 30
; NumVGPRsForWavesPerEU: 31
; Occupancy: 8
; WaveLimiterHint : 0
; COMPUTE_PGM_RSRC2:SCRATCH_EN: 0
; COMPUTE_PGM_RSRC2:USER_SGPR: 6
; COMPUTE_PGM_RSRC2:TRAP_HANDLER: 0
; COMPUTE_PGM_RSRC2:TGID_X_EN: 1
; COMPUTE_PGM_RSRC2:TGID_Y_EN: 1
; COMPUTE_PGM_RSRC2:TGID_Z_EN: 0
; COMPUTE_PGM_RSRC2:TIDIG_COMP_CNT: 0
	.section	.text._ZN9rocsparseL35gtsv_nopivot_pcr_pow2_shared_kernelILj2E21rocsparse_complex_numIfEEEviiiPKT0_S5_S5_PS3_,"axG",@progbits,_ZN9rocsparseL35gtsv_nopivot_pcr_pow2_shared_kernelILj2E21rocsparse_complex_numIfEEEviiiPKT0_S5_S5_PS3_,comdat
	.globl	_ZN9rocsparseL35gtsv_nopivot_pcr_pow2_shared_kernelILj2E21rocsparse_complex_numIfEEEviiiPKT0_S5_S5_PS3_ ; -- Begin function _ZN9rocsparseL35gtsv_nopivot_pcr_pow2_shared_kernelILj2E21rocsparse_complex_numIfEEEviiiPKT0_S5_S5_PS3_
	.p2align	8
	.type	_ZN9rocsparseL35gtsv_nopivot_pcr_pow2_shared_kernelILj2E21rocsparse_complex_numIfEEEviiiPKT0_S5_S5_PS3_,@function
_ZN9rocsparseL35gtsv_nopivot_pcr_pow2_shared_kernelILj2E21rocsparse_complex_numIfEEEviiiPKT0_S5_S5_PS3_: ; @_ZN9rocsparseL35gtsv_nopivot_pcr_pow2_shared_kernelILj2E21rocsparse_complex_numIfEEEviiiPKT0_S5_S5_PS3_
; %bb.0:
	s_load_dwordx8 s[8:15], s[4:5], 0x10
	s_load_dword s0, s[4:5], 0x8
	v_mov_b32_e32 v3, 0
	v_lshlrev_b32_e32 v4, 3, v0
	s_waitcnt lgkmcnt(0)
	global_load_dwordx2 v[5:6], v4, s[8:9]
	global_load_dwordx2 v[7:8], v4, s[10:11]
	;; [unrolled: 1-line block ×3, first 2 shown]
	s_mul_i32 s0, s0, s6
	v_add_u32_e32 v2, s0, v0
	v_lshlrev_b64 v[1:2], 3, v[2:3]
	v_mov_b32_e32 v11, s15
	v_add_co_u32_e32 v1, vcc, s14, v1
	v_addc_co_u32_e32 v2, vcc, v11, v2, vcc
	global_load_dwordx2 v[11:12], v[1:2], off
	v_cmp_eq_u32_e32 vcc, 0, v0
	s_waitcnt vmcnt(2)
	ds_write2_b64 v4, v[5:6], v[7:8] offset1:4
	s_waitcnt vmcnt(0)
	ds_write2_b64 v4, v[9:10], v[11:12] offset0:8 offset1:16
	s_waitcnt lgkmcnt(0)
	; wave barrier
	s_and_saveexec_b64 s[0:1], vcc
	s_cbranch_execz .LBB50_2
; %bb.1:
	v_or_b32_e32 v0, 32, v4
	ds_read2_b64 v[5:8], v3 offset0:1 offset1:5
	ds_read_b64 v[9:10], v0
	v_or_b32_e32 v11, 64, v4
	v_or_b32_e32 v0, 0x80, v4
	ds_read_b64 v[11:12], v11
	ds_read_b64 v[13:14], v0
	ds_read_b64 v[15:16], v3 offset:136
	s_waitcnt lgkmcnt(3)
	v_mul_f32_e32 v17, v10, v7
	s_waitcnt lgkmcnt(2)
	v_mul_f32_e32 v19, v6, v11
	v_mul_f32_e64 v0, v10, -v8
	v_fmac_f32_e32 v17, v8, v9
	v_mul_f32_e64 v18, v6, -v12
	v_fmac_f32_e32 v19, v12, v5
	v_fmac_f32_e32 v0, v7, v9
	;; [unrolled: 1-line block ×3, first 2 shown]
	v_sub_f32_e32 v17, v17, v19
	s_waitcnt lgkmcnt(0)
	v_mul_f32_e64 v19, v16, -v12
	v_sub_f32_e32 v0, v0, v18
	v_mul_f32_e32 v18, v17, v17
	v_fmac_f32_e32 v19, v11, v15
	v_mul_f32_e32 v11, v16, v11
	v_fmac_f32_e32 v18, v0, v0
	v_fmac_f32_e32 v11, v12, v15
	v_mul_f32_e64 v12, v10, -v16
	v_mul_f32_e32 v10, v10, v15
	v_fmac_f32_e32 v12, v15, v9
	v_fmac_f32_e32 v10, v16, v9
	v_div_scale_f32 v9, s[2:3], v18, v18, 1.0
	v_div_scale_f32 v15, vcc, 1.0, v18, 1.0
	v_rcp_f32_e32 v16, v9
	v_fma_f32 v20, -v9, v16, 1.0
	v_fmac_f32_e32 v16, v20, v16
	v_mul_f32_e32 v20, v15, v16
	v_fma_f32 v21, -v9, v20, v15
	v_fmac_f32_e32 v20, v21, v16
	v_fma_f32 v9, -v9, v20, v15
	v_div_fmas_f32 v9, v9, v16, v20
	v_mul_f32_e64 v15, v14, -v8
	v_mul_f32_e32 v16, v14, v7
	v_mul_f32_e64 v20, v6, -v14
	v_mul_f32_e32 v6, v6, v13
	v_fmac_f32_e32 v15, v7, v13
	v_fmac_f32_e32 v16, v8, v13
	v_fma_f32 v7, 0, v17, v0
	v_fma_f32 v0, v0, 0, -v17
	v_fmac_f32_e32 v20, v13, v5
	v_fmac_f32_e32 v6, v14, v5
	v_sub_f32_e32 v15, v15, v19
	v_sub_f32_e32 v11, v16, v11
	;; [unrolled: 1-line block ×4, first 2 shown]
	v_div_fixup_f32 v8, v9, v18, 1.0
	v_mul_f32_e32 v0, v0, v8
	v_mul_f32_e32 v16, v7, v8
	v_mul_f32_e64 v7, v0, -v11
	v_mul_f32_e32 v8, v0, v15
	v_mul_f32_e64 v9, v0, -v6
	v_mul_f32_e32 v10, v0, v5
	v_fmac_f32_e32 v7, v15, v16
	v_fmac_f32_e32 v8, v11, v16
	;; [unrolled: 1-line block ×4, first 2 shown]
	ds_write_b128 v3, v[7:10] offset:96
.LBB50_2:
	s_or_b64 exec, exec, s[0:1]
	s_waitcnt lgkmcnt(0)
	; wave barrier
	ds_read_b64 v[3:4], v4 offset:96
	s_waitcnt lgkmcnt(0)
	global_store_dwordx2 v[1:2], v[3:4], off
	s_endpgm
	.section	.rodata,"a",@progbits
	.p2align	6, 0x0
	.amdhsa_kernel _ZN9rocsparseL35gtsv_nopivot_pcr_pow2_shared_kernelILj2E21rocsparse_complex_numIfEEEviiiPKT0_S5_S5_PS3_
		.amdhsa_group_segment_fixed_size 152
		.amdhsa_private_segment_fixed_size 0
		.amdhsa_kernarg_size 48
		.amdhsa_user_sgpr_count 6
		.amdhsa_user_sgpr_private_segment_buffer 1
		.amdhsa_user_sgpr_dispatch_ptr 0
		.amdhsa_user_sgpr_queue_ptr 0
		.amdhsa_user_sgpr_kernarg_segment_ptr 1
		.amdhsa_user_sgpr_dispatch_id 0
		.amdhsa_user_sgpr_flat_scratch_init 0
		.amdhsa_user_sgpr_private_segment_size 0
		.amdhsa_uses_dynamic_stack 0
		.amdhsa_system_sgpr_private_segment_wavefront_offset 0
		.amdhsa_system_sgpr_workgroup_id_x 1
		.amdhsa_system_sgpr_workgroup_id_y 0
		.amdhsa_system_sgpr_workgroup_id_z 0
		.amdhsa_system_sgpr_workgroup_info 0
		.amdhsa_system_vgpr_workitem_id 0
		.amdhsa_next_free_vgpr 22
		.amdhsa_next_free_sgpr 16
		.amdhsa_reserve_vcc 1
		.amdhsa_reserve_flat_scratch 0
		.amdhsa_float_round_mode_32 0
		.amdhsa_float_round_mode_16_64 0
		.amdhsa_float_denorm_mode_32 3
		.amdhsa_float_denorm_mode_16_64 3
		.amdhsa_dx10_clamp 1
		.amdhsa_ieee_mode 1
		.amdhsa_fp16_overflow 0
		.amdhsa_exception_fp_ieee_invalid_op 0
		.amdhsa_exception_fp_denorm_src 0
		.amdhsa_exception_fp_ieee_div_zero 0
		.amdhsa_exception_fp_ieee_overflow 0
		.amdhsa_exception_fp_ieee_underflow 0
		.amdhsa_exception_fp_ieee_inexact 0
		.amdhsa_exception_int_div_zero 0
	.end_amdhsa_kernel
	.section	.text._ZN9rocsparseL35gtsv_nopivot_pcr_pow2_shared_kernelILj2E21rocsparse_complex_numIfEEEviiiPKT0_S5_S5_PS3_,"axG",@progbits,_ZN9rocsparseL35gtsv_nopivot_pcr_pow2_shared_kernelILj2E21rocsparse_complex_numIfEEEviiiPKT0_S5_S5_PS3_,comdat
.Lfunc_end50:
	.size	_ZN9rocsparseL35gtsv_nopivot_pcr_pow2_shared_kernelILj2E21rocsparse_complex_numIfEEEviiiPKT0_S5_S5_PS3_, .Lfunc_end50-_ZN9rocsparseL35gtsv_nopivot_pcr_pow2_shared_kernelILj2E21rocsparse_complex_numIfEEEviiiPKT0_S5_S5_PS3_
                                        ; -- End function
	.set _ZN9rocsparseL35gtsv_nopivot_pcr_pow2_shared_kernelILj2E21rocsparse_complex_numIfEEEviiiPKT0_S5_S5_PS3_.num_vgpr, 22
	.set _ZN9rocsparseL35gtsv_nopivot_pcr_pow2_shared_kernelILj2E21rocsparse_complex_numIfEEEviiiPKT0_S5_S5_PS3_.num_agpr, 0
	.set _ZN9rocsparseL35gtsv_nopivot_pcr_pow2_shared_kernelILj2E21rocsparse_complex_numIfEEEviiiPKT0_S5_S5_PS3_.numbered_sgpr, 16
	.set _ZN9rocsparseL35gtsv_nopivot_pcr_pow2_shared_kernelILj2E21rocsparse_complex_numIfEEEviiiPKT0_S5_S5_PS3_.num_named_barrier, 0
	.set _ZN9rocsparseL35gtsv_nopivot_pcr_pow2_shared_kernelILj2E21rocsparse_complex_numIfEEEviiiPKT0_S5_S5_PS3_.private_seg_size, 0
	.set _ZN9rocsparseL35gtsv_nopivot_pcr_pow2_shared_kernelILj2E21rocsparse_complex_numIfEEEviiiPKT0_S5_S5_PS3_.uses_vcc, 1
	.set _ZN9rocsparseL35gtsv_nopivot_pcr_pow2_shared_kernelILj2E21rocsparse_complex_numIfEEEviiiPKT0_S5_S5_PS3_.uses_flat_scratch, 0
	.set _ZN9rocsparseL35gtsv_nopivot_pcr_pow2_shared_kernelILj2E21rocsparse_complex_numIfEEEviiiPKT0_S5_S5_PS3_.has_dyn_sized_stack, 0
	.set _ZN9rocsparseL35gtsv_nopivot_pcr_pow2_shared_kernelILj2E21rocsparse_complex_numIfEEEviiiPKT0_S5_S5_PS3_.has_recursion, 0
	.set _ZN9rocsparseL35gtsv_nopivot_pcr_pow2_shared_kernelILj2E21rocsparse_complex_numIfEEEviiiPKT0_S5_S5_PS3_.has_indirect_call, 0
	.section	.AMDGPU.csdata,"",@progbits
; Kernel info:
; codeLenInByte = 524
; TotalNumSgprs: 20
; NumVgprs: 22
; ScratchSize: 0
; MemoryBound: 0
; FloatMode: 240
; IeeeMode: 1
; LDSByteSize: 152 bytes/workgroup (compile time only)
; SGPRBlocks: 2
; VGPRBlocks: 5
; NumSGPRsForWavesPerEU: 20
; NumVGPRsForWavesPerEU: 22
; Occupancy: 10
; WaveLimiterHint : 0
; COMPUTE_PGM_RSRC2:SCRATCH_EN: 0
; COMPUTE_PGM_RSRC2:USER_SGPR: 6
; COMPUTE_PGM_RSRC2:TRAP_HANDLER: 0
; COMPUTE_PGM_RSRC2:TGID_X_EN: 1
; COMPUTE_PGM_RSRC2:TGID_Y_EN: 0
; COMPUTE_PGM_RSRC2:TGID_Z_EN: 0
; COMPUTE_PGM_RSRC2:TIDIG_COMP_CNT: 0
	.section	.text._ZN9rocsparseL35gtsv_nopivot_pcr_pow2_shared_kernelILj4E21rocsparse_complex_numIfEEEviiiPKT0_S5_S5_PS3_,"axG",@progbits,_ZN9rocsparseL35gtsv_nopivot_pcr_pow2_shared_kernelILj4E21rocsparse_complex_numIfEEEviiiPKT0_S5_S5_PS3_,comdat
	.globl	_ZN9rocsparseL35gtsv_nopivot_pcr_pow2_shared_kernelILj4E21rocsparse_complex_numIfEEEviiiPKT0_S5_S5_PS3_ ; -- Begin function _ZN9rocsparseL35gtsv_nopivot_pcr_pow2_shared_kernelILj4E21rocsparse_complex_numIfEEEviiiPKT0_S5_S5_PS3_
	.p2align	8
	.type	_ZN9rocsparseL35gtsv_nopivot_pcr_pow2_shared_kernelILj4E21rocsparse_complex_numIfEEEviiiPKT0_S5_S5_PS3_,@function
_ZN9rocsparseL35gtsv_nopivot_pcr_pow2_shared_kernelILj4E21rocsparse_complex_numIfEEEviiiPKT0_S5_S5_PS3_: ; @_ZN9rocsparseL35gtsv_nopivot_pcr_pow2_shared_kernelILj4E21rocsparse_complex_numIfEEEviiiPKT0_S5_S5_PS3_
; %bb.0:
	s_load_dwordx8 s[8:15], s[4:5], 0x10
	s_load_dword s0, s[4:5], 0x8
	v_mov_b32_e32 v2, 0
	v_lshlrev_b32_e32 v3, 3, v0
	v_sub_u32_e64 v12, v0, 1 clamp
	s_waitcnt lgkmcnt(0)
	v_mov_b32_e32 v10, s15
	s_mul_i32 s0, s0, s6
	v_add_u32_e32 v1, s0, v0
	v_lshlrev_b64 v[1:2], 3, v[1:2]
	global_load_dwordx2 v[4:5], v3, s[8:9]
	global_load_dwordx2 v[6:7], v3, s[10:11]
	;; [unrolled: 1-line block ×3, first 2 shown]
	v_add_co_u32_e32 v1, vcc, s14, v1
	v_addc_co_u32_e32 v2, vcc, v10, v2, vcc
	global_load_dwordx2 v[10:11], v[1:2], off
	v_lshlrev_b32_e32 v12, 3, v12
	s_waitcnt vmcnt(2)
	ds_write2_b64 v3, v[4:5], v[6:7] offset1:6
	s_waitcnt vmcnt(0)
	ds_write2_b64 v3, v[8:9], v[10:11] offset0:12 offset1:24
	s_waitcnt lgkmcnt(0)
	; wave barrier
	ds_read2_b64 v[4:7], v12 offset1:6
	s_waitcnt lgkmcnt(0)
	v_mul_f32_e32 v16, v7, v7
	v_fmac_f32_e32 v16, v6, v6
	v_div_scale_f32 v8, s[0:1], v16, v16, 1.0
	v_div_scale_f32 v9, vcc, 1.0, v16, 1.0
	v_rcp_f32_e32 v10, v8
	v_fma_f32 v11, -v8, v10, 1.0
	v_fmac_f32_e32 v10, v11, v10
	v_mul_f32_e32 v11, v9, v10
	v_fma_f32 v13, -v8, v11, v9
	v_fmac_f32_e32 v11, v13, v10
	v_fma_f32 v8, -v8, v11, v9
	v_div_fmas_f32 v17, v8, v10, v11
	ds_read2_b64 v[8:11], v3 offset1:6
	v_min_u32_e32 v13, 2, v0
	v_lshlrev_b32_e32 v18, 3, v13
	ds_read2_b64 v[12:15], v12 offset0:12 offset1:24
	s_waitcnt lgkmcnt(1)
	v_mul_f32_e32 v19, v7, v9
	v_mul_f32_e64 v7, v7, -v8
	v_fmac_f32_e32 v19, v8, v6
	v_fmac_f32_e32 v7, v9, v6
	v_div_fixup_f32 v6, v17, v16, 1.0
	v_mul_f32_e32 v17, v7, v6
	v_mul_f32_e32 v16, v6, v19
	;; [unrolled: 1-line block ×3, first 2 shown]
	v_mul_f32_e64 v7, v17, -v4
	v_fma_f32 v8, -v4, v16, v6
	v_fma_f32 v9, -v5, v16, v7
	ds_read2_b64 v[4:7], v18 offset0:1 offset1:7
	s_waitcnt lgkmcnt(1)
	v_mul_f32_e64 v19, v17, -v13
	v_mul_f32_e32 v20, v17, v12
	v_fmac_f32_e32 v19, v12, v16
	v_fmac_f32_e32 v20, v13, v16
	s_waitcnt lgkmcnt(0)
	v_mul_f32_e32 v12, v7, v7
	v_fmac_f32_e32 v12, v6, v6
	v_div_scale_f32 v13, s[0:1], v12, v12, 1.0
	v_mul_f32_e64 v21, v17, -v15
	v_mul_f32_e32 v17, v17, v14
	v_fmac_f32_e32 v21, v14, v16
	v_div_scale_f32 v14, vcc, 1.0, v12, 1.0
	v_fmac_f32_e32 v17, v15, v16
	v_rcp_f32_e32 v15, v13
	v_fma_f32 v16, -v13, v15, 1.0
	v_fmac_f32_e32 v15, v16, v15
	v_mul_f32_e32 v16, v14, v15
	v_fma_f32 v22, -v13, v16, v14
	v_fmac_f32_e32 v16, v22, v15
	v_fma_f32 v13, -v13, v16, v14
	v_div_fmas_f32 v13, v13, v15, v16
	v_cmp_gt_u32_e32 vcc, 2, v0
	v_div_fixup_f32 v16, v13, v12, 1.0
	ds_read2_b64 v[12:15], v3 offset0:12 offset1:24
	s_waitcnt lgkmcnt(0)
	v_mul_f32_e32 v22, v7, v13
	v_mul_f32_e64 v7, v7, -v12
	v_fmac_f32_e32 v7, v13, v6
	v_fmac_f32_e32 v22, v12, v6
	v_mul_f32_e32 v13, v7, v16
	v_mul_f32_e32 v12, v16, v22
	v_mul_f32_e64 v16, v13, -v5
	v_mul_f32_e32 v22, v13, v4
	v_fmac_f32_e32 v16, v4, v12
	v_fmac_f32_e32 v22, v5, v12
	ds_read2_b64 v[4:7], v18 offset0:13 offset1:25
	s_waitcnt lgkmcnt(0)
	; wave barrier
	v_mul_f32_e32 v18, v13, v5
	v_mul_f32_e64 v23, v13, -v4
	v_fma_f32 v4, -v4, v12, v18
	v_mul_f32_e64 v18, v13, -v7
	v_mul_f32_e32 v13, v13, v6
	v_fmac_f32_e32 v18, v6, v12
	v_fmac_f32_e32 v13, v7, v12
	v_sub_f32_e32 v6, v10, v19
	v_sub_f32_e32 v7, v11, v20
	;; [unrolled: 1-line block ×6, first 2 shown]
	v_fma_f32 v5, -v5, v12, v23
	v_sub_f32_e32 v10, v10, v18
	v_sub_f32_e32 v11, v11, v13
	ds_write2_b64 v3, v[8:9], v[6:7] offset1:6
	ds_write2_b64 v3, v[4:5], v[10:11] offset0:12 offset1:24
	s_waitcnt lgkmcnt(0)
	; wave barrier
	s_and_saveexec_b64 s[0:1], vcc
	s_cbranch_execz .LBB51_2
; %bb.1:
	v_add_u32_e32 v0, 48, v3
	ds_read2_b64 v[4:7], v0 offset1:2
	v_or_b32_e32 v0, 0x60, v3
	ds_read_b64 v[12:13], v0
	ds_read_b64 v[14:15], v3 offset:16
	s_waitcnt lgkmcnt(2)
	v_mul_f32_e32 v8, v5, v6
	v_mul_f32_e64 v0, v5, -v7
	s_waitcnt lgkmcnt(0)
	v_mul_f32_e32 v10, v15, v12
	v_fmac_f32_e32 v8, v7, v4
	v_mul_f32_e64 v9, v15, -v13
	v_fmac_f32_e32 v10, v13, v14
	v_fmac_f32_e32 v0, v6, v4
	;; [unrolled: 1-line block ×3, first 2 shown]
	v_sub_f32_e32 v16, v8, v10
	v_sub_f32_e32 v0, v0, v9
	v_mul_f32_e32 v17, v16, v16
	v_fmac_f32_e32 v17, v0, v0
	v_div_scale_f32 v18, s[2:3], v17, v17, 1.0
	v_div_scale_f32 v19, vcc, 1.0, v17, 1.0
	v_or_b32_e32 v8, 0xc0, v3
	ds_read2_b64 v[8:11], v8 offset1:2
	s_waitcnt lgkmcnt(0)
	v_mul_f32_e32 v22, v9, v6
	v_mul_f32_e64 v21, v9, -v7
	v_mul_f32_e64 v23, v11, -v13
	v_fmac_f32_e32 v22, v7, v8
	v_fmac_f32_e32 v21, v6, v8
	;; [unrolled: 1-line block ×3, first 2 shown]
	v_rcp_f32_e32 v20, v18
	v_sub_f32_e32 v6, v21, v23
	v_fma_f32 v24, -v18, v20, 1.0
	v_fmac_f32_e32 v20, v24, v20
	v_mul_f32_e32 v24, v19, v20
	v_fma_f32 v25, -v18, v24, v19
	v_fmac_f32_e32 v24, v25, v20
	v_fma_f32 v18, -v18, v24, v19
	v_div_fmas_f32 v18, v18, v20, v24
	v_mul_f32_e32 v19, v11, v12
	v_mul_f32_e64 v20, v5, -v11
	v_mul_f32_e32 v24, v5, v10
	v_fmac_f32_e32 v19, v13, v10
	v_fmac_f32_e32 v20, v10, v4
	;; [unrolled: 1-line block ×3, first 2 shown]
	v_fma_f32 v4, 0, v16, v0
	v_fma_f32 v0, v0, 0, -v16
	v_sub_f32_e32 v7, v22, v19
	v_mul_f32_e64 v25, v15, -v9
	v_fmac_f32_e32 v25, v8, v14
	v_div_fixup_f32 v5, v18, v17, 1.0
	v_mul_f32_e32 v0, v0, v5
	v_mul_f32_e32 v10, v4, v5
	v_mul_f32_e64 v4, v0, -v7
	v_mul_f32_e32 v5, v0, v6
	v_fmac_f32_e32 v4, v6, v10
	v_mul_f32_e32 v6, v15, v8
	v_fmac_f32_e32 v6, v9, v14
	v_sub_f32_e32 v8, v24, v6
	v_fmac_f32_e32 v5, v7, v10
	v_sub_f32_e32 v7, v20, v25
	v_mul_f32_e64 v6, v0, -v8
	v_fmac_f32_e32 v6, v7, v10
	v_mul_f32_e32 v7, v0, v7
	v_fmac_f32_e32 v7, v8, v10
	ds_write2_b64 v3, v[4:5], v[6:7] offset0:18 offset1:20
.LBB51_2:
	s_or_b64 exec, exec, s[0:1]
	s_waitcnt lgkmcnt(0)
	; wave barrier
	ds_read_b64 v[3:4], v3 offset:144
	s_waitcnt lgkmcnt(0)
	global_store_dwordx2 v[1:2], v[3:4], off
	s_endpgm
	.section	.rodata,"a",@progbits
	.p2align	6, 0x0
	.amdhsa_kernel _ZN9rocsparseL35gtsv_nopivot_pcr_pow2_shared_kernelILj4E21rocsparse_complex_numIfEEEviiiPKT0_S5_S5_PS3_
		.amdhsa_group_segment_fixed_size 232
		.amdhsa_private_segment_fixed_size 0
		.amdhsa_kernarg_size 48
		.amdhsa_user_sgpr_count 6
		.amdhsa_user_sgpr_private_segment_buffer 1
		.amdhsa_user_sgpr_dispatch_ptr 0
		.amdhsa_user_sgpr_queue_ptr 0
		.amdhsa_user_sgpr_kernarg_segment_ptr 1
		.amdhsa_user_sgpr_dispatch_id 0
		.amdhsa_user_sgpr_flat_scratch_init 0
		.amdhsa_user_sgpr_private_segment_size 0
		.amdhsa_uses_dynamic_stack 0
		.amdhsa_system_sgpr_private_segment_wavefront_offset 0
		.amdhsa_system_sgpr_workgroup_id_x 1
		.amdhsa_system_sgpr_workgroup_id_y 0
		.amdhsa_system_sgpr_workgroup_id_z 0
		.amdhsa_system_sgpr_workgroup_info 0
		.amdhsa_system_vgpr_workitem_id 0
		.amdhsa_next_free_vgpr 26
		.amdhsa_next_free_sgpr 16
		.amdhsa_reserve_vcc 1
		.amdhsa_reserve_flat_scratch 0
		.amdhsa_float_round_mode_32 0
		.amdhsa_float_round_mode_16_64 0
		.amdhsa_float_denorm_mode_32 3
		.amdhsa_float_denorm_mode_16_64 3
		.amdhsa_dx10_clamp 1
		.amdhsa_ieee_mode 1
		.amdhsa_fp16_overflow 0
		.amdhsa_exception_fp_ieee_invalid_op 0
		.amdhsa_exception_fp_denorm_src 0
		.amdhsa_exception_fp_ieee_div_zero 0
		.amdhsa_exception_fp_ieee_overflow 0
		.amdhsa_exception_fp_ieee_underflow 0
		.amdhsa_exception_fp_ieee_inexact 0
		.amdhsa_exception_int_div_zero 0
	.end_amdhsa_kernel
	.section	.text._ZN9rocsparseL35gtsv_nopivot_pcr_pow2_shared_kernelILj4E21rocsparse_complex_numIfEEEviiiPKT0_S5_S5_PS3_,"axG",@progbits,_ZN9rocsparseL35gtsv_nopivot_pcr_pow2_shared_kernelILj4E21rocsparse_complex_numIfEEEviiiPKT0_S5_S5_PS3_,comdat
.Lfunc_end51:
	.size	_ZN9rocsparseL35gtsv_nopivot_pcr_pow2_shared_kernelILj4E21rocsparse_complex_numIfEEEviiiPKT0_S5_S5_PS3_, .Lfunc_end51-_ZN9rocsparseL35gtsv_nopivot_pcr_pow2_shared_kernelILj4E21rocsparse_complex_numIfEEEviiiPKT0_S5_S5_PS3_
                                        ; -- End function
	.set _ZN9rocsparseL35gtsv_nopivot_pcr_pow2_shared_kernelILj4E21rocsparse_complex_numIfEEEviiiPKT0_S5_S5_PS3_.num_vgpr, 26
	.set _ZN9rocsparseL35gtsv_nopivot_pcr_pow2_shared_kernelILj4E21rocsparse_complex_numIfEEEviiiPKT0_S5_S5_PS3_.num_agpr, 0
	.set _ZN9rocsparseL35gtsv_nopivot_pcr_pow2_shared_kernelILj4E21rocsparse_complex_numIfEEEviiiPKT0_S5_S5_PS3_.numbered_sgpr, 16
	.set _ZN9rocsparseL35gtsv_nopivot_pcr_pow2_shared_kernelILj4E21rocsparse_complex_numIfEEEviiiPKT0_S5_S5_PS3_.num_named_barrier, 0
	.set _ZN9rocsparseL35gtsv_nopivot_pcr_pow2_shared_kernelILj4E21rocsparse_complex_numIfEEEviiiPKT0_S5_S5_PS3_.private_seg_size, 0
	.set _ZN9rocsparseL35gtsv_nopivot_pcr_pow2_shared_kernelILj4E21rocsparse_complex_numIfEEEviiiPKT0_S5_S5_PS3_.uses_vcc, 1
	.set _ZN9rocsparseL35gtsv_nopivot_pcr_pow2_shared_kernelILj4E21rocsparse_complex_numIfEEEviiiPKT0_S5_S5_PS3_.uses_flat_scratch, 0
	.set _ZN9rocsparseL35gtsv_nopivot_pcr_pow2_shared_kernelILj4E21rocsparse_complex_numIfEEEviiiPKT0_S5_S5_PS3_.has_dyn_sized_stack, 0
	.set _ZN9rocsparseL35gtsv_nopivot_pcr_pow2_shared_kernelILj4E21rocsparse_complex_numIfEEEviiiPKT0_S5_S5_PS3_.has_recursion, 0
	.set _ZN9rocsparseL35gtsv_nopivot_pcr_pow2_shared_kernelILj4E21rocsparse_complex_numIfEEEviiiPKT0_S5_S5_PS3_.has_indirect_call, 0
	.section	.AMDGPU.csdata,"",@progbits
; Kernel info:
; codeLenInByte = 1016
; TotalNumSgprs: 20
; NumVgprs: 26
; ScratchSize: 0
; MemoryBound: 0
; FloatMode: 240
; IeeeMode: 1
; LDSByteSize: 232 bytes/workgroup (compile time only)
; SGPRBlocks: 2
; VGPRBlocks: 6
; NumSGPRsForWavesPerEU: 20
; NumVGPRsForWavesPerEU: 26
; Occupancy: 9
; WaveLimiterHint : 0
; COMPUTE_PGM_RSRC2:SCRATCH_EN: 0
; COMPUTE_PGM_RSRC2:USER_SGPR: 6
; COMPUTE_PGM_RSRC2:TRAP_HANDLER: 0
; COMPUTE_PGM_RSRC2:TGID_X_EN: 1
; COMPUTE_PGM_RSRC2:TGID_Y_EN: 0
; COMPUTE_PGM_RSRC2:TGID_Z_EN: 0
; COMPUTE_PGM_RSRC2:TIDIG_COMP_CNT: 0
	.section	.text._ZN9rocsparseL35gtsv_nopivot_pcr_pow2_shared_kernelILj8E21rocsparse_complex_numIfEEEviiiPKT0_S5_S5_PS3_,"axG",@progbits,_ZN9rocsparseL35gtsv_nopivot_pcr_pow2_shared_kernelILj8E21rocsparse_complex_numIfEEEviiiPKT0_S5_S5_PS3_,comdat
	.globl	_ZN9rocsparseL35gtsv_nopivot_pcr_pow2_shared_kernelILj8E21rocsparse_complex_numIfEEEviiiPKT0_S5_S5_PS3_ ; -- Begin function _ZN9rocsparseL35gtsv_nopivot_pcr_pow2_shared_kernelILj8E21rocsparse_complex_numIfEEEviiiPKT0_S5_S5_PS3_
	.p2align	8
	.type	_ZN9rocsparseL35gtsv_nopivot_pcr_pow2_shared_kernelILj8E21rocsparse_complex_numIfEEEviiiPKT0_S5_S5_PS3_,@function
_ZN9rocsparseL35gtsv_nopivot_pcr_pow2_shared_kernelILj8E21rocsparse_complex_numIfEEEviiiPKT0_S5_S5_PS3_: ; @_ZN9rocsparseL35gtsv_nopivot_pcr_pow2_shared_kernelILj8E21rocsparse_complex_numIfEEEviiiPKT0_S5_S5_PS3_
; %bb.0:
	s_load_dwordx8 s[8:15], s[4:5], 0x10
	s_load_dword s0, s[4:5], 0x8
	v_mov_b32_e32 v2, 0
	v_lshlrev_b32_e32 v3, 3, v0
	v_sub_u32_e64 v12, v0, 1 clamp
	s_waitcnt lgkmcnt(0)
	v_mov_b32_e32 v10, s15
	s_mul_i32 s0, s0, s6
	v_add_u32_e32 v1, s0, v0
	v_lshlrev_b64 v[1:2], 3, v[1:2]
	global_load_dwordx2 v[4:5], v3, s[8:9]
	global_load_dwordx2 v[6:7], v3, s[10:11]
	;; [unrolled: 1-line block ×3, first 2 shown]
	v_add_co_u32_e32 v1, vcc, s14, v1
	v_addc_co_u32_e32 v2, vcc, v10, v2, vcc
	global_load_dwordx2 v[10:11], v[1:2], off
	v_lshlrev_b32_e32 v12, 3, v12
	s_waitcnt vmcnt(2)
	ds_write2_b64 v3, v[4:5], v[6:7] offset1:10
	s_waitcnt vmcnt(0)
	ds_write2_b64 v3, v[8:9], v[10:11] offset0:20 offset1:40
	s_waitcnt lgkmcnt(0)
	; wave barrier
	ds_read2_b64 v[4:7], v12 offset1:10
	s_waitcnt lgkmcnt(0)
	v_mul_f32_e32 v16, v7, v7
	v_fmac_f32_e32 v16, v6, v6
	v_div_scale_f32 v8, s[0:1], v16, v16, 1.0
	v_div_scale_f32 v9, vcc, 1.0, v16, 1.0
	v_rcp_f32_e32 v10, v8
	v_fma_f32 v11, -v8, v10, 1.0
	v_fmac_f32_e32 v10, v11, v10
	v_mul_f32_e32 v11, v9, v10
	v_fma_f32 v13, -v8, v11, v9
	v_fmac_f32_e32 v11, v13, v10
	v_fma_f32 v8, -v8, v11, v9
	v_div_fmas_f32 v17, v8, v10, v11
	ds_read2_b64 v[8:11], v3 offset1:10
	v_min_u32_e32 v13, 6, v0
	v_lshlrev_b32_e32 v18, 3, v13
	ds_read2_b64 v[12:15], v12 offset0:20 offset1:40
	s_waitcnt lgkmcnt(1)
	v_mul_f32_e32 v19, v7, v9
	v_mul_f32_e64 v7, v7, -v8
	v_fmac_f32_e32 v19, v8, v6
	v_fmac_f32_e32 v7, v9, v6
	v_div_fixup_f32 v6, v17, v16, 1.0
	v_mul_f32_e32 v17, v7, v6
	v_mul_f32_e32 v16, v6, v19
	;; [unrolled: 1-line block ×3, first 2 shown]
	v_mul_f32_e64 v7, v17, -v4
	v_fma_f32 v8, -v4, v16, v6
	v_fma_f32 v9, -v5, v16, v7
	ds_read2_b64 v[4:7], v18 offset0:1 offset1:11
	s_waitcnt lgkmcnt(1)
	v_mul_f32_e64 v19, v17, -v13
	v_mul_f32_e32 v20, v17, v12
	v_fmac_f32_e32 v19, v12, v16
	v_fmac_f32_e32 v20, v13, v16
	s_waitcnt lgkmcnt(0)
	v_mul_f32_e32 v12, v7, v7
	v_fmac_f32_e32 v12, v6, v6
	v_div_scale_f32 v13, s[0:1], v12, v12, 1.0
	v_mul_f32_e64 v21, v17, -v15
	v_mul_f32_e32 v17, v17, v14
	v_fmac_f32_e32 v21, v14, v16
	v_div_scale_f32 v14, vcc, 1.0, v12, 1.0
	v_fmac_f32_e32 v17, v15, v16
	v_rcp_f32_e32 v15, v13
	v_fma_f32 v16, -v13, v15, 1.0
	v_fmac_f32_e32 v15, v16, v15
	v_mul_f32_e32 v16, v14, v15
	v_fma_f32 v22, -v13, v16, v14
	v_fmac_f32_e32 v16, v22, v15
	v_fma_f32 v13, -v13, v16, v14
	v_div_fmas_f32 v13, v13, v15, v16
	v_div_fixup_f32 v16, v13, v12, 1.0
	ds_read2_b64 v[12:15], v3 offset0:20 offset1:40
	s_waitcnt lgkmcnt(0)
	v_mul_f32_e32 v22, v7, v13
	v_mul_f32_e64 v7, v7, -v12
	v_fmac_f32_e32 v7, v13, v6
	v_fmac_f32_e32 v22, v12, v6
	v_mul_f32_e32 v13, v7, v16
	v_mul_f32_e32 v12, v16, v22
	v_mul_f32_e64 v16, v13, -v5
	v_mul_f32_e32 v22, v13, v4
	v_fmac_f32_e32 v16, v4, v12
	v_fmac_f32_e32 v22, v5, v12
	ds_read2_b64 v[4:7], v18 offset0:21 offset1:41
	s_waitcnt lgkmcnt(0)
	; wave barrier
	v_mul_f32_e32 v18, v13, v5
	v_mul_f32_e64 v23, v13, -v4
	v_fma_f32 v4, -v4, v12, v18
	v_mul_f32_e64 v18, v13, -v7
	v_mul_f32_e32 v13, v13, v6
	v_fmac_f32_e32 v18, v6, v12
	v_fmac_f32_e32 v13, v7, v12
	v_sub_f32_e32 v6, v10, v19
	v_sub_f32_e32 v7, v11, v20
	v_sub_u32_e64 v10, v0, 2 clamp
	v_fma_f32 v5, -v5, v12, v23
	v_lshlrev_b32_e32 v12, 3, v10
	v_sub_f32_e32 v10, v14, v21
	v_sub_f32_e32 v11, v15, v17
	;; [unrolled: 1-line block ×6, first 2 shown]
	ds_write2_b64 v3, v[8:9], v[6:7] offset1:10
	ds_write2_b64 v3, v[4:5], v[10:11] offset0:20 offset1:40
	s_waitcnt lgkmcnt(0)
	; wave barrier
	ds_read2_b64 v[4:7], v12 offset1:10
	s_waitcnt lgkmcnt(0)
	v_mul_f32_e32 v16, v7, v7
	v_fmac_f32_e32 v16, v6, v6
	v_div_scale_f32 v8, s[0:1], v16, v16, 1.0
	v_div_scale_f32 v9, vcc, 1.0, v16, 1.0
	v_rcp_f32_e32 v10, v8
	v_fma_f32 v11, -v8, v10, 1.0
	v_fmac_f32_e32 v10, v11, v10
	v_mul_f32_e32 v11, v9, v10
	v_fma_f32 v13, -v8, v11, v9
	v_fmac_f32_e32 v11, v13, v10
	v_fma_f32 v8, -v8, v11, v9
	v_div_fmas_f32 v17, v8, v10, v11
	ds_read2_b64 v[8:11], v3 offset1:10
	v_min_u32_e32 v13, 5, v0
	v_lshlrev_b32_e32 v18, 3, v13
	ds_read2_b64 v[12:15], v12 offset0:20 offset1:40
	s_waitcnt lgkmcnt(1)
	v_mul_f32_e32 v19, v7, v9
	v_mul_f32_e64 v7, v7, -v8
	v_fmac_f32_e32 v19, v8, v6
	v_fmac_f32_e32 v7, v9, v6
	v_div_fixup_f32 v6, v17, v16, 1.0
	v_mul_f32_e32 v17, v7, v6
	v_mul_f32_e32 v16, v6, v19
	;; [unrolled: 1-line block ×3, first 2 shown]
	v_mul_f32_e64 v7, v17, -v4
	v_fma_f32 v8, -v4, v16, v6
	v_fma_f32 v9, -v5, v16, v7
	ds_read2_b64 v[4:7], v18 offset0:2 offset1:12
	s_waitcnt lgkmcnt(1)
	v_mul_f32_e64 v19, v17, -v13
	v_mul_f32_e32 v20, v17, v12
	v_fmac_f32_e32 v19, v12, v16
	v_fmac_f32_e32 v20, v13, v16
	s_waitcnt lgkmcnt(0)
	v_mul_f32_e32 v12, v7, v7
	v_fmac_f32_e32 v12, v6, v6
	v_div_scale_f32 v13, s[0:1], v12, v12, 1.0
	v_mul_f32_e64 v21, v17, -v15
	v_mul_f32_e32 v17, v17, v14
	v_fmac_f32_e32 v21, v14, v16
	v_div_scale_f32 v14, vcc, 1.0, v12, 1.0
	v_fmac_f32_e32 v17, v15, v16
	v_rcp_f32_e32 v15, v13
	v_fma_f32 v16, -v13, v15, 1.0
	v_fmac_f32_e32 v15, v16, v15
	v_mul_f32_e32 v16, v14, v15
	v_fma_f32 v22, -v13, v16, v14
	v_fmac_f32_e32 v16, v22, v15
	v_fma_f32 v13, -v13, v16, v14
	v_div_fmas_f32 v13, v13, v15, v16
	v_cmp_gt_u32_e32 vcc, 4, v0
	v_div_fixup_f32 v16, v13, v12, 1.0
	ds_read2_b64 v[12:15], v3 offset0:20 offset1:40
	s_waitcnt lgkmcnt(0)
	v_mul_f32_e32 v22, v7, v13
	v_mul_f32_e64 v7, v7, -v12
	v_fmac_f32_e32 v7, v13, v6
	v_fmac_f32_e32 v22, v12, v6
	v_mul_f32_e32 v13, v7, v16
	v_mul_f32_e32 v12, v16, v22
	v_mul_f32_e64 v16, v13, -v5
	v_mul_f32_e32 v22, v13, v4
	v_fmac_f32_e32 v16, v4, v12
	v_fmac_f32_e32 v22, v5, v12
	ds_read2_b64 v[4:7], v18 offset0:22 offset1:42
	s_waitcnt lgkmcnt(0)
	; wave barrier
	v_mul_f32_e32 v18, v13, v5
	v_mul_f32_e64 v23, v13, -v4
	v_fma_f32 v4, -v4, v12, v18
	v_mul_f32_e64 v18, v13, -v7
	v_mul_f32_e32 v13, v13, v6
	v_fmac_f32_e32 v18, v6, v12
	v_fmac_f32_e32 v13, v7, v12
	v_sub_f32_e32 v6, v10, v19
	v_sub_f32_e32 v7, v11, v20
	v_sub_f32_e32 v10, v14, v21
	v_sub_f32_e32 v11, v15, v17
	v_sub_f32_e32 v6, v6, v16
	v_sub_f32_e32 v7, v7, v22
	v_fma_f32 v5, -v5, v12, v23
	v_sub_f32_e32 v10, v10, v18
	v_sub_f32_e32 v11, v11, v13
	ds_write2_b64 v3, v[8:9], v[6:7] offset1:10
	ds_write2_b64 v3, v[4:5], v[10:11] offset0:20 offset1:40
	s_waitcnt lgkmcnt(0)
	; wave barrier
	s_and_saveexec_b64 s[0:1], vcc
	s_cbranch_execz .LBB52_2
; %bb.1:
	v_add_u32_e32 v0, 0x50, v3
	ds_read2_b64 v[4:7], v0 offset1:4
	v_add_u32_e32 v0, 0xa0, v3
	ds_read_b64 v[12:13], v0
	ds_read_b64 v[14:15], v3 offset:32
	s_waitcnt lgkmcnt(2)
	v_mul_f32_e32 v8, v5, v6
	v_mul_f32_e64 v0, v5, -v7
	s_waitcnt lgkmcnt(0)
	v_mul_f32_e32 v10, v15, v12
	v_fmac_f32_e32 v8, v7, v4
	v_mul_f32_e64 v9, v15, -v13
	v_fmac_f32_e32 v10, v13, v14
	v_fmac_f32_e32 v0, v6, v4
	;; [unrolled: 1-line block ×3, first 2 shown]
	v_sub_f32_e32 v16, v8, v10
	v_sub_f32_e32 v0, v0, v9
	v_mul_f32_e32 v17, v16, v16
	v_fmac_f32_e32 v17, v0, v0
	v_div_scale_f32 v18, s[2:3], v17, v17, 1.0
	v_div_scale_f32 v19, vcc, 1.0, v17, 1.0
	v_or_b32_e32 v8, 0x140, v3
	ds_read2_b64 v[8:11], v8 offset1:4
	s_waitcnt lgkmcnt(0)
	v_mul_f32_e32 v22, v9, v6
	v_mul_f32_e64 v21, v9, -v7
	v_mul_f32_e64 v23, v11, -v13
	v_fmac_f32_e32 v22, v7, v8
	v_fmac_f32_e32 v21, v6, v8
	;; [unrolled: 1-line block ×3, first 2 shown]
	v_rcp_f32_e32 v20, v18
	v_sub_f32_e32 v6, v21, v23
	v_fma_f32 v24, -v18, v20, 1.0
	v_fmac_f32_e32 v20, v24, v20
	v_mul_f32_e32 v24, v19, v20
	v_fma_f32 v25, -v18, v24, v19
	v_fmac_f32_e32 v24, v25, v20
	v_fma_f32 v18, -v18, v24, v19
	v_div_fmas_f32 v18, v18, v20, v24
	v_mul_f32_e32 v19, v11, v12
	v_mul_f32_e64 v20, v5, -v11
	v_mul_f32_e32 v24, v5, v10
	v_fmac_f32_e32 v19, v13, v10
	v_fmac_f32_e32 v20, v10, v4
	v_fmac_f32_e32 v24, v11, v4
	v_fma_f32 v4, 0, v16, v0
	v_fma_f32 v0, v0, 0, -v16
	v_sub_f32_e32 v7, v22, v19
	v_mul_f32_e64 v25, v15, -v9
	v_fmac_f32_e32 v25, v8, v14
	v_div_fixup_f32 v5, v18, v17, 1.0
	v_mul_f32_e32 v0, v0, v5
	v_mul_f32_e32 v10, v4, v5
	v_mul_f32_e64 v4, v0, -v7
	v_mul_f32_e32 v5, v0, v6
	v_fmac_f32_e32 v4, v6, v10
	v_mul_f32_e32 v6, v15, v8
	v_fmac_f32_e32 v6, v9, v14
	v_sub_f32_e32 v8, v24, v6
	v_fmac_f32_e32 v5, v7, v10
	v_sub_f32_e32 v7, v20, v25
	v_mul_f32_e64 v6, v0, -v8
	v_fmac_f32_e32 v6, v7, v10
	v_mul_f32_e32 v7, v0, v7
	v_fmac_f32_e32 v7, v8, v10
	ds_write2_b64 v3, v[4:5], v[6:7] offset0:30 offset1:34
.LBB52_2:
	s_or_b64 exec, exec, s[0:1]
	s_waitcnt lgkmcnt(0)
	; wave barrier
	ds_read_b64 v[3:4], v3 offset:240
	s_waitcnt lgkmcnt(0)
	global_store_dwordx2 v[1:2], v[3:4], off
	s_endpgm
	.section	.rodata,"a",@progbits
	.p2align	6, 0x0
	.amdhsa_kernel _ZN9rocsparseL35gtsv_nopivot_pcr_pow2_shared_kernelILj8E21rocsparse_complex_numIfEEEviiiPKT0_S5_S5_PS3_
		.amdhsa_group_segment_fixed_size 392
		.amdhsa_private_segment_fixed_size 0
		.amdhsa_kernarg_size 48
		.amdhsa_user_sgpr_count 6
		.amdhsa_user_sgpr_private_segment_buffer 1
		.amdhsa_user_sgpr_dispatch_ptr 0
		.amdhsa_user_sgpr_queue_ptr 0
		.amdhsa_user_sgpr_kernarg_segment_ptr 1
		.amdhsa_user_sgpr_dispatch_id 0
		.amdhsa_user_sgpr_flat_scratch_init 0
		.amdhsa_user_sgpr_private_segment_size 0
		.amdhsa_uses_dynamic_stack 0
		.amdhsa_system_sgpr_private_segment_wavefront_offset 0
		.amdhsa_system_sgpr_workgroup_id_x 1
		.amdhsa_system_sgpr_workgroup_id_y 0
		.amdhsa_system_sgpr_workgroup_id_z 0
		.amdhsa_system_sgpr_workgroup_info 0
		.amdhsa_system_vgpr_workitem_id 0
		.amdhsa_next_free_vgpr 26
		.amdhsa_next_free_sgpr 16
		.amdhsa_reserve_vcc 1
		.amdhsa_reserve_flat_scratch 0
		.amdhsa_float_round_mode_32 0
		.amdhsa_float_round_mode_16_64 0
		.amdhsa_float_denorm_mode_32 3
		.amdhsa_float_denorm_mode_16_64 3
		.amdhsa_dx10_clamp 1
		.amdhsa_ieee_mode 1
		.amdhsa_fp16_overflow 0
		.amdhsa_exception_fp_ieee_invalid_op 0
		.amdhsa_exception_fp_denorm_src 0
		.amdhsa_exception_fp_ieee_div_zero 0
		.amdhsa_exception_fp_ieee_overflow 0
		.amdhsa_exception_fp_ieee_underflow 0
		.amdhsa_exception_fp_ieee_inexact 0
		.amdhsa_exception_int_div_zero 0
	.end_amdhsa_kernel
	.section	.text._ZN9rocsparseL35gtsv_nopivot_pcr_pow2_shared_kernelILj8E21rocsparse_complex_numIfEEEviiiPKT0_S5_S5_PS3_,"axG",@progbits,_ZN9rocsparseL35gtsv_nopivot_pcr_pow2_shared_kernelILj8E21rocsparse_complex_numIfEEEviiiPKT0_S5_S5_PS3_,comdat
.Lfunc_end52:
	.size	_ZN9rocsparseL35gtsv_nopivot_pcr_pow2_shared_kernelILj8E21rocsparse_complex_numIfEEEviiiPKT0_S5_S5_PS3_, .Lfunc_end52-_ZN9rocsparseL35gtsv_nopivot_pcr_pow2_shared_kernelILj8E21rocsparse_complex_numIfEEEviiiPKT0_S5_S5_PS3_
                                        ; -- End function
	.set _ZN9rocsparseL35gtsv_nopivot_pcr_pow2_shared_kernelILj8E21rocsparse_complex_numIfEEEviiiPKT0_S5_S5_PS3_.num_vgpr, 26
	.set _ZN9rocsparseL35gtsv_nopivot_pcr_pow2_shared_kernelILj8E21rocsparse_complex_numIfEEEviiiPKT0_S5_S5_PS3_.num_agpr, 0
	.set _ZN9rocsparseL35gtsv_nopivot_pcr_pow2_shared_kernelILj8E21rocsparse_complex_numIfEEEviiiPKT0_S5_S5_PS3_.numbered_sgpr, 16
	.set _ZN9rocsparseL35gtsv_nopivot_pcr_pow2_shared_kernelILj8E21rocsparse_complex_numIfEEEviiiPKT0_S5_S5_PS3_.num_named_barrier, 0
	.set _ZN9rocsparseL35gtsv_nopivot_pcr_pow2_shared_kernelILj8E21rocsparse_complex_numIfEEEviiiPKT0_S5_S5_PS3_.private_seg_size, 0
	.set _ZN9rocsparseL35gtsv_nopivot_pcr_pow2_shared_kernelILj8E21rocsparse_complex_numIfEEEviiiPKT0_S5_S5_PS3_.uses_vcc, 1
	.set _ZN9rocsparseL35gtsv_nopivot_pcr_pow2_shared_kernelILj8E21rocsparse_complex_numIfEEEviiiPKT0_S5_S5_PS3_.uses_flat_scratch, 0
	.set _ZN9rocsparseL35gtsv_nopivot_pcr_pow2_shared_kernelILj8E21rocsparse_complex_numIfEEEviiiPKT0_S5_S5_PS3_.has_dyn_sized_stack, 0
	.set _ZN9rocsparseL35gtsv_nopivot_pcr_pow2_shared_kernelILj8E21rocsparse_complex_numIfEEEviiiPKT0_S5_S5_PS3_.has_recursion, 0
	.set _ZN9rocsparseL35gtsv_nopivot_pcr_pow2_shared_kernelILj8E21rocsparse_complex_numIfEEEviiiPKT0_S5_S5_PS3_.has_indirect_call, 0
	.section	.AMDGPU.csdata,"",@progbits
; Kernel info:
; codeLenInByte = 1516
; TotalNumSgprs: 20
; NumVgprs: 26
; ScratchSize: 0
; MemoryBound: 0
; FloatMode: 240
; IeeeMode: 1
; LDSByteSize: 392 bytes/workgroup (compile time only)
; SGPRBlocks: 2
; VGPRBlocks: 6
; NumSGPRsForWavesPerEU: 20
; NumVGPRsForWavesPerEU: 26
; Occupancy: 9
; WaveLimiterHint : 0
; COMPUTE_PGM_RSRC2:SCRATCH_EN: 0
; COMPUTE_PGM_RSRC2:USER_SGPR: 6
; COMPUTE_PGM_RSRC2:TRAP_HANDLER: 0
; COMPUTE_PGM_RSRC2:TGID_X_EN: 1
; COMPUTE_PGM_RSRC2:TGID_Y_EN: 0
; COMPUTE_PGM_RSRC2:TGID_Z_EN: 0
; COMPUTE_PGM_RSRC2:TIDIG_COMP_CNT: 0
	.section	.text._ZN9rocsparseL35gtsv_nopivot_pcr_pow2_shared_kernelILj16E21rocsparse_complex_numIfEEEviiiPKT0_S5_S5_PS3_,"axG",@progbits,_ZN9rocsparseL35gtsv_nopivot_pcr_pow2_shared_kernelILj16E21rocsparse_complex_numIfEEEviiiPKT0_S5_S5_PS3_,comdat
	.globl	_ZN9rocsparseL35gtsv_nopivot_pcr_pow2_shared_kernelILj16E21rocsparse_complex_numIfEEEviiiPKT0_S5_S5_PS3_ ; -- Begin function _ZN9rocsparseL35gtsv_nopivot_pcr_pow2_shared_kernelILj16E21rocsparse_complex_numIfEEEviiiPKT0_S5_S5_PS3_
	.p2align	8
	.type	_ZN9rocsparseL35gtsv_nopivot_pcr_pow2_shared_kernelILj16E21rocsparse_complex_numIfEEEviiiPKT0_S5_S5_PS3_,@function
_ZN9rocsparseL35gtsv_nopivot_pcr_pow2_shared_kernelILj16E21rocsparse_complex_numIfEEEviiiPKT0_S5_S5_PS3_: ; @_ZN9rocsparseL35gtsv_nopivot_pcr_pow2_shared_kernelILj16E21rocsparse_complex_numIfEEEviiiPKT0_S5_S5_PS3_
; %bb.0:
	s_load_dwordx8 s[8:15], s[4:5], 0x10
	s_load_dword s0, s[4:5], 0x8
	v_mov_b32_e32 v2, 0
	v_lshlrev_b32_e32 v3, 3, v0
	v_sub_u32_e64 v12, v0, 1 clamp
	s_waitcnt lgkmcnt(0)
	v_mov_b32_e32 v10, s15
	s_mul_i32 s0, s0, s6
	v_add_u32_e32 v1, s0, v0
	v_lshlrev_b64 v[1:2], 3, v[1:2]
	global_load_dwordx2 v[4:5], v3, s[8:9]
	global_load_dwordx2 v[6:7], v3, s[10:11]
	;; [unrolled: 1-line block ×3, first 2 shown]
	v_add_co_u32_e32 v1, vcc, s14, v1
	v_addc_co_u32_e32 v2, vcc, v10, v2, vcc
	global_load_dwordx2 v[10:11], v[1:2], off
	v_lshlrev_b32_e32 v12, 3, v12
	s_waitcnt vmcnt(2)
	ds_write2_b64 v3, v[4:5], v[6:7] offset1:18
	s_waitcnt vmcnt(0)
	ds_write2_b64 v3, v[8:9], v[10:11] offset0:36 offset1:72
	s_waitcnt lgkmcnt(0)
	; wave barrier
	ds_read2_b64 v[4:7], v12 offset1:18
	s_waitcnt lgkmcnt(0)
	v_mul_f32_e32 v16, v7, v7
	v_fmac_f32_e32 v16, v6, v6
	v_div_scale_f32 v8, s[0:1], v16, v16, 1.0
	v_div_scale_f32 v9, vcc, 1.0, v16, 1.0
	v_rcp_f32_e32 v10, v8
	v_fma_f32 v11, -v8, v10, 1.0
	v_fmac_f32_e32 v10, v11, v10
	v_mul_f32_e32 v11, v9, v10
	v_fma_f32 v13, -v8, v11, v9
	v_fmac_f32_e32 v11, v13, v10
	v_fma_f32 v8, -v8, v11, v9
	v_div_fmas_f32 v17, v8, v10, v11
	ds_read2_b64 v[8:11], v3 offset1:18
	v_min_u32_e32 v13, 14, v0
	v_lshlrev_b32_e32 v18, 3, v13
	ds_read2_b64 v[12:15], v12 offset0:36 offset1:72
	s_waitcnt lgkmcnt(1)
	v_mul_f32_e32 v19, v7, v9
	v_mul_f32_e64 v7, v7, -v8
	v_fmac_f32_e32 v19, v8, v6
	v_fmac_f32_e32 v7, v9, v6
	v_div_fixup_f32 v6, v17, v16, 1.0
	v_mul_f32_e32 v17, v7, v6
	v_mul_f32_e32 v16, v6, v19
	;; [unrolled: 1-line block ×3, first 2 shown]
	v_mul_f32_e64 v7, v17, -v4
	v_fma_f32 v8, -v4, v16, v6
	v_fma_f32 v9, -v5, v16, v7
	ds_read2_b64 v[4:7], v18 offset0:1 offset1:19
	s_waitcnt lgkmcnt(1)
	v_mul_f32_e64 v19, v17, -v13
	v_mul_f32_e32 v20, v17, v12
	v_fmac_f32_e32 v19, v12, v16
	v_fmac_f32_e32 v20, v13, v16
	s_waitcnt lgkmcnt(0)
	v_mul_f32_e32 v12, v7, v7
	v_fmac_f32_e32 v12, v6, v6
	v_div_scale_f32 v13, s[0:1], v12, v12, 1.0
	v_mul_f32_e64 v21, v17, -v15
	v_mul_f32_e32 v17, v17, v14
	v_fmac_f32_e32 v21, v14, v16
	v_div_scale_f32 v14, vcc, 1.0, v12, 1.0
	v_fmac_f32_e32 v17, v15, v16
	v_rcp_f32_e32 v15, v13
	v_fma_f32 v16, -v13, v15, 1.0
	v_fmac_f32_e32 v15, v16, v15
	v_mul_f32_e32 v16, v14, v15
	v_fma_f32 v22, -v13, v16, v14
	v_fmac_f32_e32 v16, v22, v15
	v_fma_f32 v13, -v13, v16, v14
	v_div_fmas_f32 v13, v13, v15, v16
	v_div_fixup_f32 v16, v13, v12, 1.0
	ds_read2_b64 v[12:15], v3 offset0:36 offset1:72
	s_waitcnt lgkmcnt(0)
	v_mul_f32_e32 v22, v7, v13
	v_mul_f32_e64 v7, v7, -v12
	v_fmac_f32_e32 v7, v13, v6
	v_fmac_f32_e32 v22, v12, v6
	v_mul_f32_e32 v13, v7, v16
	v_mul_f32_e32 v12, v16, v22
	v_mul_f32_e64 v16, v13, -v5
	v_mul_f32_e32 v22, v13, v4
	v_fmac_f32_e32 v16, v4, v12
	v_fmac_f32_e32 v22, v5, v12
	ds_read2_b64 v[4:7], v18 offset0:37 offset1:73
	s_waitcnt lgkmcnt(0)
	; wave barrier
	v_mul_f32_e32 v18, v13, v5
	v_mul_f32_e64 v23, v13, -v4
	v_fma_f32 v4, -v4, v12, v18
	v_mul_f32_e64 v18, v13, -v7
	v_mul_f32_e32 v13, v13, v6
	v_fmac_f32_e32 v18, v6, v12
	v_fmac_f32_e32 v13, v7, v12
	v_sub_f32_e32 v6, v10, v19
	v_sub_f32_e32 v7, v11, v20
	v_sub_u32_e64 v10, v0, 2 clamp
	v_fma_f32 v5, -v5, v12, v23
	v_lshlrev_b32_e32 v12, 3, v10
	v_sub_f32_e32 v10, v14, v21
	v_sub_f32_e32 v11, v15, v17
	;; [unrolled: 1-line block ×6, first 2 shown]
	ds_write2_b64 v3, v[8:9], v[6:7] offset1:18
	ds_write2_b64 v3, v[4:5], v[10:11] offset0:36 offset1:72
	s_waitcnt lgkmcnt(0)
	; wave barrier
	ds_read2_b64 v[4:7], v12 offset1:18
	s_waitcnt lgkmcnt(0)
	v_mul_f32_e32 v16, v7, v7
	v_fmac_f32_e32 v16, v6, v6
	v_div_scale_f32 v8, s[0:1], v16, v16, 1.0
	v_div_scale_f32 v9, vcc, 1.0, v16, 1.0
	v_rcp_f32_e32 v10, v8
	v_fma_f32 v11, -v8, v10, 1.0
	v_fmac_f32_e32 v10, v11, v10
	v_mul_f32_e32 v11, v9, v10
	v_fma_f32 v13, -v8, v11, v9
	v_fmac_f32_e32 v11, v13, v10
	v_fma_f32 v8, -v8, v11, v9
	v_div_fmas_f32 v17, v8, v10, v11
	ds_read2_b64 v[8:11], v3 offset1:18
	v_min_u32_e32 v13, 13, v0
	v_lshlrev_b32_e32 v18, 3, v13
	ds_read2_b64 v[12:15], v12 offset0:36 offset1:72
	s_waitcnt lgkmcnt(1)
	v_mul_f32_e32 v19, v7, v9
	v_mul_f32_e64 v7, v7, -v8
	v_fmac_f32_e32 v19, v8, v6
	v_fmac_f32_e32 v7, v9, v6
	v_div_fixup_f32 v6, v17, v16, 1.0
	v_mul_f32_e32 v17, v7, v6
	v_mul_f32_e32 v16, v6, v19
	;; [unrolled: 1-line block ×3, first 2 shown]
	v_mul_f32_e64 v7, v17, -v4
	v_fma_f32 v8, -v4, v16, v6
	v_fma_f32 v9, -v5, v16, v7
	ds_read2_b64 v[4:7], v18 offset0:2 offset1:20
	s_waitcnt lgkmcnt(1)
	v_mul_f32_e64 v19, v17, -v13
	v_mul_f32_e32 v20, v17, v12
	v_fmac_f32_e32 v19, v12, v16
	v_fmac_f32_e32 v20, v13, v16
	s_waitcnt lgkmcnt(0)
	v_mul_f32_e32 v12, v7, v7
	v_fmac_f32_e32 v12, v6, v6
	v_div_scale_f32 v13, s[0:1], v12, v12, 1.0
	v_mul_f32_e64 v21, v17, -v15
	v_mul_f32_e32 v17, v17, v14
	v_fmac_f32_e32 v21, v14, v16
	v_div_scale_f32 v14, vcc, 1.0, v12, 1.0
	v_fmac_f32_e32 v17, v15, v16
	v_rcp_f32_e32 v15, v13
	v_fma_f32 v16, -v13, v15, 1.0
	v_fmac_f32_e32 v15, v16, v15
	v_mul_f32_e32 v16, v14, v15
	v_fma_f32 v22, -v13, v16, v14
	v_fmac_f32_e32 v16, v22, v15
	v_fma_f32 v13, -v13, v16, v14
	v_div_fmas_f32 v13, v13, v15, v16
	v_div_fixup_f32 v16, v13, v12, 1.0
	ds_read2_b64 v[12:15], v3 offset0:36 offset1:72
	s_waitcnt lgkmcnt(0)
	v_mul_f32_e32 v22, v7, v13
	v_mul_f32_e64 v7, v7, -v12
	v_fmac_f32_e32 v7, v13, v6
	v_fmac_f32_e32 v22, v12, v6
	v_mul_f32_e32 v13, v7, v16
	v_mul_f32_e32 v12, v16, v22
	v_mul_f32_e64 v16, v13, -v5
	v_mul_f32_e32 v22, v13, v4
	v_fmac_f32_e32 v16, v4, v12
	v_fmac_f32_e32 v22, v5, v12
	ds_read2_b64 v[4:7], v18 offset0:38 offset1:74
	s_waitcnt lgkmcnt(0)
	; wave barrier
	v_mul_f32_e32 v18, v13, v5
	v_mul_f32_e64 v23, v13, -v4
	v_fma_f32 v4, -v4, v12, v18
	v_mul_f32_e64 v18, v13, -v7
	v_mul_f32_e32 v13, v13, v6
	v_fmac_f32_e32 v18, v6, v12
	v_fmac_f32_e32 v13, v7, v12
	v_sub_f32_e32 v6, v10, v19
	v_sub_f32_e32 v7, v11, v20
	;; [unrolled: 1-line block ×6, first 2 shown]
	v_fma_f32 v5, -v5, v12, v23
	v_sub_f32_e32 v10, v10, v18
	v_sub_f32_e32 v11, v11, v13
	ds_write2_b64 v3, v[8:9], v[6:7] offset1:18
	ds_write2_b64 v3, v[4:5], v[10:11] offset0:36 offset1:72
	v_sub_u32_e64 v4, v0, 4 clamp
	v_lshlrev_b32_e32 v12, 3, v4
	s_waitcnt lgkmcnt(0)
	; wave barrier
	ds_read2_b64 v[4:7], v12 offset1:18
	s_waitcnt lgkmcnt(0)
	v_mul_f32_e32 v16, v7, v7
	v_fmac_f32_e32 v16, v6, v6
	v_div_scale_f32 v8, s[0:1], v16, v16, 1.0
	v_div_scale_f32 v9, vcc, 1.0, v16, 1.0
	v_rcp_f32_e32 v10, v8
	v_fma_f32 v11, -v8, v10, 1.0
	v_fmac_f32_e32 v10, v11, v10
	v_mul_f32_e32 v11, v9, v10
	v_fma_f32 v13, -v8, v11, v9
	v_fmac_f32_e32 v11, v13, v10
	v_fma_f32 v8, -v8, v11, v9
	v_div_fmas_f32 v17, v8, v10, v11
	ds_read2_b64 v[8:11], v3 offset1:18
	v_min_u32_e32 v13, 11, v0
	v_lshlrev_b32_e32 v18, 3, v13
	ds_read2_b64 v[12:15], v12 offset0:36 offset1:72
	s_waitcnt lgkmcnt(1)
	v_mul_f32_e32 v19, v7, v9
	v_mul_f32_e64 v7, v7, -v8
	v_fmac_f32_e32 v19, v8, v6
	v_fmac_f32_e32 v7, v9, v6
	v_div_fixup_f32 v6, v17, v16, 1.0
	v_mul_f32_e32 v17, v7, v6
	v_mul_f32_e32 v16, v6, v19
	;; [unrolled: 1-line block ×3, first 2 shown]
	v_mul_f32_e64 v7, v17, -v4
	v_fma_f32 v8, -v4, v16, v6
	v_fma_f32 v9, -v5, v16, v7
	ds_read2_b64 v[4:7], v18 offset0:4 offset1:22
	s_waitcnt lgkmcnt(1)
	v_mul_f32_e64 v19, v17, -v13
	v_mul_f32_e32 v20, v17, v12
	v_fmac_f32_e32 v19, v12, v16
	v_fmac_f32_e32 v20, v13, v16
	s_waitcnt lgkmcnt(0)
	v_mul_f32_e32 v12, v7, v7
	v_fmac_f32_e32 v12, v6, v6
	v_div_scale_f32 v13, s[0:1], v12, v12, 1.0
	v_mul_f32_e64 v21, v17, -v15
	v_mul_f32_e32 v17, v17, v14
	v_fmac_f32_e32 v21, v14, v16
	v_div_scale_f32 v14, vcc, 1.0, v12, 1.0
	v_fmac_f32_e32 v17, v15, v16
	v_rcp_f32_e32 v15, v13
	v_fma_f32 v16, -v13, v15, 1.0
	v_fmac_f32_e32 v15, v16, v15
	v_mul_f32_e32 v16, v14, v15
	v_fma_f32 v22, -v13, v16, v14
	v_fmac_f32_e32 v16, v22, v15
	v_fma_f32 v13, -v13, v16, v14
	v_div_fmas_f32 v13, v13, v15, v16
	v_cmp_gt_u32_e32 vcc, 8, v0
	v_div_fixup_f32 v16, v13, v12, 1.0
	ds_read2_b64 v[12:15], v3 offset0:36 offset1:72
	s_waitcnt lgkmcnt(0)
	v_mul_f32_e32 v22, v7, v13
	v_mul_f32_e64 v7, v7, -v12
	v_fmac_f32_e32 v22, v12, v6
	v_fmac_f32_e32 v7, v13, v6
	v_mul_f32_e32 v22, v16, v22
	v_mul_f32_e32 v16, v7, v16
	v_mul_f32_e64 v23, v16, -v5
	v_mul_f32_e32 v24, v16, v4
	v_fmac_f32_e32 v23, v4, v22
	v_fmac_f32_e32 v24, v5, v22
	ds_read2_b64 v[4:7], v18 offset0:40 offset1:76
	s_waitcnt lgkmcnt(0)
	; wave barrier
	v_mul_f32_e32 v12, v16, v5
	v_fma_f32 v12, -v4, v22, v12
	v_mul_f32_e64 v4, v16, -v4
	v_fma_f32 v13, -v5, v22, v4
	v_mul_f32_e64 v18, v16, -v7
	v_mul_f32_e32 v16, v16, v6
	v_sub_f32_e32 v4, v10, v19
	v_sub_f32_e32 v5, v11, v20
	v_fmac_f32_e32 v18, v6, v22
	v_fmac_f32_e32 v16, v7, v22
	v_sub_f32_e32 v6, v14, v21
	v_sub_f32_e32 v7, v15, v17
	;; [unrolled: 1-line block ×6, first 2 shown]
	ds_write2_b64 v3, v[8:9], v[4:5] offset1:18
	ds_write2_b64 v3, v[12:13], v[6:7] offset0:36 offset1:72
	s_waitcnt lgkmcnt(0)
	; wave barrier
	s_and_saveexec_b64 s[0:1], vcc
	s_cbranch_execz .LBB53_2
; %bb.1:
	v_add_u32_e32 v0, 0x90, v3
	ds_read2_b64 v[4:7], v0 offset1:8
	v_add_u32_e32 v0, 0x120, v3
	ds_read_b64 v[12:13], v0
	ds_read_b64 v[14:15], v3 offset:64
	s_waitcnt lgkmcnt(2)
	v_mul_f32_e32 v8, v5, v6
	v_mul_f32_e64 v0, v5, -v7
	s_waitcnt lgkmcnt(0)
	v_mul_f32_e32 v10, v15, v12
	v_fmac_f32_e32 v8, v7, v4
	v_mul_f32_e64 v9, v15, -v13
	v_fmac_f32_e32 v10, v13, v14
	v_fmac_f32_e32 v0, v6, v4
	;; [unrolled: 1-line block ×3, first 2 shown]
	v_sub_f32_e32 v16, v8, v10
	v_sub_f32_e32 v0, v0, v9
	v_mul_f32_e32 v17, v16, v16
	v_fmac_f32_e32 v17, v0, v0
	v_div_scale_f32 v18, s[2:3], v17, v17, 1.0
	v_div_scale_f32 v19, vcc, 1.0, v17, 1.0
	v_add_u32_e32 v8, 0x240, v3
	ds_read2_b64 v[8:11], v8 offset1:8
	s_waitcnt lgkmcnt(0)
	v_mul_f32_e32 v22, v9, v6
	v_mul_f32_e64 v21, v9, -v7
	v_mul_f32_e64 v23, v11, -v13
	v_fmac_f32_e32 v22, v7, v8
	v_fmac_f32_e32 v21, v6, v8
	;; [unrolled: 1-line block ×3, first 2 shown]
	v_rcp_f32_e32 v20, v18
	v_sub_f32_e32 v6, v21, v23
	v_fma_f32 v24, -v18, v20, 1.0
	v_fmac_f32_e32 v20, v24, v20
	v_mul_f32_e32 v24, v19, v20
	v_fma_f32 v25, -v18, v24, v19
	v_fmac_f32_e32 v24, v25, v20
	v_fma_f32 v18, -v18, v24, v19
	v_div_fmas_f32 v18, v18, v20, v24
	v_mul_f32_e32 v19, v11, v12
	v_mul_f32_e64 v20, v5, -v11
	v_mul_f32_e32 v24, v5, v10
	v_fmac_f32_e32 v19, v13, v10
	v_fmac_f32_e32 v20, v10, v4
	;; [unrolled: 1-line block ×3, first 2 shown]
	v_fma_f32 v4, 0, v16, v0
	v_fma_f32 v0, v0, 0, -v16
	v_sub_f32_e32 v7, v22, v19
	v_mul_f32_e64 v25, v15, -v9
	v_fmac_f32_e32 v25, v8, v14
	v_div_fixup_f32 v5, v18, v17, 1.0
	v_mul_f32_e32 v0, v0, v5
	v_mul_f32_e32 v10, v4, v5
	v_mul_f32_e64 v4, v0, -v7
	v_mul_f32_e32 v5, v0, v6
	v_fmac_f32_e32 v4, v6, v10
	v_mul_f32_e32 v6, v15, v8
	v_fmac_f32_e32 v6, v9, v14
	v_sub_f32_e32 v8, v24, v6
	v_fmac_f32_e32 v5, v7, v10
	v_sub_f32_e32 v7, v20, v25
	v_mul_f32_e64 v6, v0, -v8
	v_fmac_f32_e32 v6, v7, v10
	v_mul_f32_e32 v7, v0, v7
	v_fmac_f32_e32 v7, v8, v10
	ds_write2_b64 v3, v[4:5], v[6:7] offset0:54 offset1:62
.LBB53_2:
	s_or_b64 exec, exec, s[0:1]
	s_waitcnt lgkmcnt(0)
	; wave barrier
	ds_read_b64 v[3:4], v3 offset:432
	s_waitcnt lgkmcnt(0)
	global_store_dwordx2 v[1:2], v[3:4], off
	s_endpgm
	.section	.rodata,"a",@progbits
	.p2align	6, 0x0
	.amdhsa_kernel _ZN9rocsparseL35gtsv_nopivot_pcr_pow2_shared_kernelILj16E21rocsparse_complex_numIfEEEviiiPKT0_S5_S5_PS3_
		.amdhsa_group_segment_fixed_size 712
		.amdhsa_private_segment_fixed_size 0
		.amdhsa_kernarg_size 48
		.amdhsa_user_sgpr_count 6
		.amdhsa_user_sgpr_private_segment_buffer 1
		.amdhsa_user_sgpr_dispatch_ptr 0
		.amdhsa_user_sgpr_queue_ptr 0
		.amdhsa_user_sgpr_kernarg_segment_ptr 1
		.amdhsa_user_sgpr_dispatch_id 0
		.amdhsa_user_sgpr_flat_scratch_init 0
		.amdhsa_user_sgpr_private_segment_size 0
		.amdhsa_uses_dynamic_stack 0
		.amdhsa_system_sgpr_private_segment_wavefront_offset 0
		.amdhsa_system_sgpr_workgroup_id_x 1
		.amdhsa_system_sgpr_workgroup_id_y 0
		.amdhsa_system_sgpr_workgroup_id_z 0
		.amdhsa_system_sgpr_workgroup_info 0
		.amdhsa_system_vgpr_workitem_id 0
		.amdhsa_next_free_vgpr 26
		.amdhsa_next_free_sgpr 16
		.amdhsa_reserve_vcc 1
		.amdhsa_reserve_flat_scratch 0
		.amdhsa_float_round_mode_32 0
		.amdhsa_float_round_mode_16_64 0
		.amdhsa_float_denorm_mode_32 3
		.amdhsa_float_denorm_mode_16_64 3
		.amdhsa_dx10_clamp 1
		.amdhsa_ieee_mode 1
		.amdhsa_fp16_overflow 0
		.amdhsa_exception_fp_ieee_invalid_op 0
		.amdhsa_exception_fp_denorm_src 0
		.amdhsa_exception_fp_ieee_div_zero 0
		.amdhsa_exception_fp_ieee_overflow 0
		.amdhsa_exception_fp_ieee_underflow 0
		.amdhsa_exception_fp_ieee_inexact 0
		.amdhsa_exception_int_div_zero 0
	.end_amdhsa_kernel
	.section	.text._ZN9rocsparseL35gtsv_nopivot_pcr_pow2_shared_kernelILj16E21rocsparse_complex_numIfEEEviiiPKT0_S5_S5_PS3_,"axG",@progbits,_ZN9rocsparseL35gtsv_nopivot_pcr_pow2_shared_kernelILj16E21rocsparse_complex_numIfEEEviiiPKT0_S5_S5_PS3_,comdat
.Lfunc_end53:
	.size	_ZN9rocsparseL35gtsv_nopivot_pcr_pow2_shared_kernelILj16E21rocsparse_complex_numIfEEEviiiPKT0_S5_S5_PS3_, .Lfunc_end53-_ZN9rocsparseL35gtsv_nopivot_pcr_pow2_shared_kernelILj16E21rocsparse_complex_numIfEEEviiiPKT0_S5_S5_PS3_
                                        ; -- End function
	.set _ZN9rocsparseL35gtsv_nopivot_pcr_pow2_shared_kernelILj16E21rocsparse_complex_numIfEEEviiiPKT0_S5_S5_PS3_.num_vgpr, 26
	.set _ZN9rocsparseL35gtsv_nopivot_pcr_pow2_shared_kernelILj16E21rocsparse_complex_numIfEEEviiiPKT0_S5_S5_PS3_.num_agpr, 0
	.set _ZN9rocsparseL35gtsv_nopivot_pcr_pow2_shared_kernelILj16E21rocsparse_complex_numIfEEEviiiPKT0_S5_S5_PS3_.numbered_sgpr, 16
	.set _ZN9rocsparseL35gtsv_nopivot_pcr_pow2_shared_kernelILj16E21rocsparse_complex_numIfEEEviiiPKT0_S5_S5_PS3_.num_named_barrier, 0
	.set _ZN9rocsparseL35gtsv_nopivot_pcr_pow2_shared_kernelILj16E21rocsparse_complex_numIfEEEviiiPKT0_S5_S5_PS3_.private_seg_size, 0
	.set _ZN9rocsparseL35gtsv_nopivot_pcr_pow2_shared_kernelILj16E21rocsparse_complex_numIfEEEviiiPKT0_S5_S5_PS3_.uses_vcc, 1
	.set _ZN9rocsparseL35gtsv_nopivot_pcr_pow2_shared_kernelILj16E21rocsparse_complex_numIfEEEviiiPKT0_S5_S5_PS3_.uses_flat_scratch, 0
	.set _ZN9rocsparseL35gtsv_nopivot_pcr_pow2_shared_kernelILj16E21rocsparse_complex_numIfEEEviiiPKT0_S5_S5_PS3_.has_dyn_sized_stack, 0
	.set _ZN9rocsparseL35gtsv_nopivot_pcr_pow2_shared_kernelILj16E21rocsparse_complex_numIfEEEviiiPKT0_S5_S5_PS3_.has_recursion, 0
	.set _ZN9rocsparseL35gtsv_nopivot_pcr_pow2_shared_kernelILj16E21rocsparse_complex_numIfEEEviiiPKT0_S5_S5_PS3_.has_indirect_call, 0
	.section	.AMDGPU.csdata,"",@progbits
; Kernel info:
; codeLenInByte = 2012
; TotalNumSgprs: 20
; NumVgprs: 26
; ScratchSize: 0
; MemoryBound: 0
; FloatMode: 240
; IeeeMode: 1
; LDSByteSize: 712 bytes/workgroup (compile time only)
; SGPRBlocks: 2
; VGPRBlocks: 6
; NumSGPRsForWavesPerEU: 20
; NumVGPRsForWavesPerEU: 26
; Occupancy: 9
; WaveLimiterHint : 0
; COMPUTE_PGM_RSRC2:SCRATCH_EN: 0
; COMPUTE_PGM_RSRC2:USER_SGPR: 6
; COMPUTE_PGM_RSRC2:TRAP_HANDLER: 0
; COMPUTE_PGM_RSRC2:TGID_X_EN: 1
; COMPUTE_PGM_RSRC2:TGID_Y_EN: 0
; COMPUTE_PGM_RSRC2:TGID_Z_EN: 0
; COMPUTE_PGM_RSRC2:TIDIG_COMP_CNT: 0
	.section	.text._ZN9rocsparseL35gtsv_nopivot_pcr_pow2_shared_kernelILj32E21rocsparse_complex_numIfEEEviiiPKT0_S5_S5_PS3_,"axG",@progbits,_ZN9rocsparseL35gtsv_nopivot_pcr_pow2_shared_kernelILj32E21rocsparse_complex_numIfEEEviiiPKT0_S5_S5_PS3_,comdat
	.globl	_ZN9rocsparseL35gtsv_nopivot_pcr_pow2_shared_kernelILj32E21rocsparse_complex_numIfEEEviiiPKT0_S5_S5_PS3_ ; -- Begin function _ZN9rocsparseL35gtsv_nopivot_pcr_pow2_shared_kernelILj32E21rocsparse_complex_numIfEEEviiiPKT0_S5_S5_PS3_
	.p2align	8
	.type	_ZN9rocsparseL35gtsv_nopivot_pcr_pow2_shared_kernelILj32E21rocsparse_complex_numIfEEEviiiPKT0_S5_S5_PS3_,@function
_ZN9rocsparseL35gtsv_nopivot_pcr_pow2_shared_kernelILj32E21rocsparse_complex_numIfEEEviiiPKT0_S5_S5_PS3_: ; @_ZN9rocsparseL35gtsv_nopivot_pcr_pow2_shared_kernelILj32E21rocsparse_complex_numIfEEEviiiPKT0_S5_S5_PS3_
; %bb.0:
	s_load_dwordx8 s[8:15], s[4:5], 0x10
	s_load_dword s0, s[4:5], 0x8
	v_mov_b32_e32 v2, 0
	v_lshlrev_b32_e32 v3, 3, v0
	v_sub_u32_e64 v12, v0, 1 clamp
	s_waitcnt lgkmcnt(0)
	v_mov_b32_e32 v10, s15
	s_mul_i32 s0, s0, s6
	v_add_u32_e32 v1, s0, v0
	v_lshlrev_b64 v[1:2], 3, v[1:2]
	global_load_dwordx2 v[4:5], v3, s[8:9]
	global_load_dwordx2 v[6:7], v3, s[10:11]
	;; [unrolled: 1-line block ×3, first 2 shown]
	v_add_co_u32_e32 v1, vcc, s14, v1
	v_addc_co_u32_e32 v2, vcc, v10, v2, vcc
	global_load_dwordx2 v[10:11], v[1:2], off
	v_lshlrev_b32_e32 v12, 3, v12
	s_waitcnt vmcnt(2)
	ds_write2_b64 v3, v[4:5], v[6:7] offset1:34
	s_waitcnt vmcnt(0)
	ds_write2_b64 v3, v[8:9], v[10:11] offset0:68 offset1:136
	s_waitcnt lgkmcnt(0)
	; wave barrier
	ds_read2_b64 v[4:7], v12 offset1:34
	s_waitcnt lgkmcnt(0)
	v_mul_f32_e32 v16, v7, v7
	v_fmac_f32_e32 v16, v6, v6
	v_div_scale_f32 v8, s[0:1], v16, v16, 1.0
	v_div_scale_f32 v9, vcc, 1.0, v16, 1.0
	v_rcp_f32_e32 v10, v8
	v_fma_f32 v11, -v8, v10, 1.0
	v_fmac_f32_e32 v10, v11, v10
	v_mul_f32_e32 v11, v9, v10
	v_fma_f32 v13, -v8, v11, v9
	v_fmac_f32_e32 v11, v13, v10
	v_fma_f32 v8, -v8, v11, v9
	v_div_fmas_f32 v17, v8, v10, v11
	ds_read2_b64 v[8:11], v3 offset1:34
	v_min_u32_e32 v13, 30, v0
	v_lshlrev_b32_e32 v18, 3, v13
	ds_read2_b64 v[12:15], v12 offset0:68 offset1:136
	s_waitcnt lgkmcnt(1)
	v_mul_f32_e32 v19, v7, v9
	v_mul_f32_e64 v7, v7, -v8
	v_fmac_f32_e32 v19, v8, v6
	v_fmac_f32_e32 v7, v9, v6
	v_div_fixup_f32 v6, v17, v16, 1.0
	v_mul_f32_e32 v17, v7, v6
	v_mul_f32_e32 v16, v6, v19
	;; [unrolled: 1-line block ×3, first 2 shown]
	v_mul_f32_e64 v7, v17, -v4
	v_fma_f32 v8, -v4, v16, v6
	v_fma_f32 v9, -v5, v16, v7
	ds_read2_b64 v[4:7], v18 offset0:1 offset1:35
	s_waitcnt lgkmcnt(1)
	v_mul_f32_e64 v19, v17, -v13
	v_mul_f32_e32 v20, v17, v12
	v_fmac_f32_e32 v19, v12, v16
	v_fmac_f32_e32 v20, v13, v16
	s_waitcnt lgkmcnt(0)
	v_mul_f32_e32 v12, v7, v7
	v_fmac_f32_e32 v12, v6, v6
	v_div_scale_f32 v13, s[0:1], v12, v12, 1.0
	v_mul_f32_e64 v21, v17, -v15
	v_mul_f32_e32 v17, v17, v14
	v_fmac_f32_e32 v21, v14, v16
	v_div_scale_f32 v14, vcc, 1.0, v12, 1.0
	v_fmac_f32_e32 v17, v15, v16
	v_rcp_f32_e32 v15, v13
	v_fma_f32 v16, -v13, v15, 1.0
	v_fmac_f32_e32 v15, v16, v15
	v_mul_f32_e32 v16, v14, v15
	v_fma_f32 v22, -v13, v16, v14
	v_fmac_f32_e32 v16, v22, v15
	v_fma_f32 v13, -v13, v16, v14
	v_div_fmas_f32 v13, v13, v15, v16
	v_div_fixup_f32 v16, v13, v12, 1.0
	ds_read2_b64 v[12:15], v3 offset0:68 offset1:136
	s_waitcnt lgkmcnt(0)
	v_mul_f32_e32 v22, v7, v13
	v_mul_f32_e64 v7, v7, -v12
	v_fmac_f32_e32 v7, v13, v6
	v_fmac_f32_e32 v22, v12, v6
	v_mul_f32_e32 v13, v7, v16
	v_mul_f32_e32 v12, v16, v22
	v_mul_f32_e64 v16, v13, -v5
	v_mul_f32_e32 v22, v13, v4
	v_fmac_f32_e32 v16, v4, v12
	v_fmac_f32_e32 v22, v5, v12
	ds_read2_b64 v[4:7], v18 offset0:69 offset1:137
	s_waitcnt lgkmcnt(0)
	; wave barrier
	v_mul_f32_e32 v18, v13, v5
	v_mul_f32_e64 v23, v13, -v4
	v_fma_f32 v4, -v4, v12, v18
	v_mul_f32_e64 v18, v13, -v7
	v_mul_f32_e32 v13, v13, v6
	v_fmac_f32_e32 v18, v6, v12
	v_fmac_f32_e32 v13, v7, v12
	v_sub_f32_e32 v6, v10, v19
	v_sub_f32_e32 v7, v11, v20
	v_sub_u32_e64 v10, v0, 2 clamp
	v_fma_f32 v5, -v5, v12, v23
	v_lshlrev_b32_e32 v12, 3, v10
	v_sub_f32_e32 v10, v14, v21
	v_sub_f32_e32 v11, v15, v17
	;; [unrolled: 1-line block ×6, first 2 shown]
	ds_write2_b64 v3, v[8:9], v[6:7] offset1:34
	ds_write2_b64 v3, v[4:5], v[10:11] offset0:68 offset1:136
	s_waitcnt lgkmcnt(0)
	; wave barrier
	ds_read2_b64 v[4:7], v12 offset1:34
	s_waitcnt lgkmcnt(0)
	v_mul_f32_e32 v16, v7, v7
	v_fmac_f32_e32 v16, v6, v6
	v_div_scale_f32 v8, s[0:1], v16, v16, 1.0
	v_div_scale_f32 v9, vcc, 1.0, v16, 1.0
	v_rcp_f32_e32 v10, v8
	v_fma_f32 v11, -v8, v10, 1.0
	v_fmac_f32_e32 v10, v11, v10
	v_mul_f32_e32 v11, v9, v10
	v_fma_f32 v13, -v8, v11, v9
	v_fmac_f32_e32 v11, v13, v10
	v_fma_f32 v8, -v8, v11, v9
	v_div_fmas_f32 v17, v8, v10, v11
	ds_read2_b64 v[8:11], v3 offset1:34
	v_min_u32_e32 v13, 29, v0
	v_lshlrev_b32_e32 v18, 3, v13
	ds_read2_b64 v[12:15], v12 offset0:68 offset1:136
	s_waitcnt lgkmcnt(1)
	v_mul_f32_e32 v19, v7, v9
	v_mul_f32_e64 v7, v7, -v8
	v_fmac_f32_e32 v19, v8, v6
	v_fmac_f32_e32 v7, v9, v6
	v_div_fixup_f32 v6, v17, v16, 1.0
	v_mul_f32_e32 v17, v7, v6
	v_mul_f32_e32 v16, v6, v19
	;; [unrolled: 1-line block ×3, first 2 shown]
	v_mul_f32_e64 v7, v17, -v4
	v_fma_f32 v8, -v4, v16, v6
	v_fma_f32 v9, -v5, v16, v7
	ds_read2_b64 v[4:7], v18 offset0:2 offset1:36
	s_waitcnt lgkmcnt(1)
	v_mul_f32_e64 v19, v17, -v13
	v_mul_f32_e32 v20, v17, v12
	v_fmac_f32_e32 v19, v12, v16
	v_fmac_f32_e32 v20, v13, v16
	s_waitcnt lgkmcnt(0)
	v_mul_f32_e32 v12, v7, v7
	v_fmac_f32_e32 v12, v6, v6
	v_div_scale_f32 v13, s[0:1], v12, v12, 1.0
	v_mul_f32_e64 v21, v17, -v15
	v_mul_f32_e32 v17, v17, v14
	v_fmac_f32_e32 v21, v14, v16
	v_div_scale_f32 v14, vcc, 1.0, v12, 1.0
	v_fmac_f32_e32 v17, v15, v16
	v_rcp_f32_e32 v15, v13
	v_fma_f32 v16, -v13, v15, 1.0
	v_fmac_f32_e32 v15, v16, v15
	v_mul_f32_e32 v16, v14, v15
	v_fma_f32 v22, -v13, v16, v14
	v_fmac_f32_e32 v16, v22, v15
	v_fma_f32 v13, -v13, v16, v14
	v_div_fmas_f32 v13, v13, v15, v16
	v_div_fixup_f32 v16, v13, v12, 1.0
	ds_read2_b64 v[12:15], v3 offset0:68 offset1:136
	s_waitcnt lgkmcnt(0)
	v_mul_f32_e32 v22, v7, v13
	v_mul_f32_e64 v7, v7, -v12
	v_fmac_f32_e32 v7, v13, v6
	v_fmac_f32_e32 v22, v12, v6
	v_mul_f32_e32 v13, v7, v16
	v_mul_f32_e32 v12, v16, v22
	v_mul_f32_e64 v16, v13, -v5
	v_mul_f32_e32 v22, v13, v4
	v_fmac_f32_e32 v16, v4, v12
	v_fmac_f32_e32 v22, v5, v12
	ds_read2_b64 v[4:7], v18 offset0:70 offset1:138
	s_waitcnt lgkmcnt(0)
	; wave barrier
	v_mul_f32_e32 v18, v13, v5
	v_mul_f32_e64 v23, v13, -v4
	v_fma_f32 v4, -v4, v12, v18
	v_mul_f32_e64 v18, v13, -v7
	v_mul_f32_e32 v13, v13, v6
	v_fmac_f32_e32 v18, v6, v12
	v_fmac_f32_e32 v13, v7, v12
	v_sub_f32_e32 v6, v10, v19
	v_sub_f32_e32 v7, v11, v20
	;; [unrolled: 1-line block ×6, first 2 shown]
	v_fma_f32 v5, -v5, v12, v23
	v_sub_f32_e32 v10, v10, v18
	v_sub_f32_e32 v11, v11, v13
	ds_write2_b64 v3, v[8:9], v[6:7] offset1:34
	ds_write2_b64 v3, v[4:5], v[10:11] offset0:68 offset1:136
	v_sub_u32_e64 v4, v0, 4 clamp
	v_lshlrev_b32_e32 v12, 3, v4
	s_waitcnt lgkmcnt(0)
	; wave barrier
	ds_read2_b64 v[4:7], v12 offset1:34
	s_waitcnt lgkmcnt(0)
	v_mul_f32_e32 v16, v7, v7
	v_fmac_f32_e32 v16, v6, v6
	v_div_scale_f32 v8, s[0:1], v16, v16, 1.0
	v_div_scale_f32 v9, vcc, 1.0, v16, 1.0
	v_rcp_f32_e32 v10, v8
	v_fma_f32 v11, -v8, v10, 1.0
	v_fmac_f32_e32 v10, v11, v10
	v_mul_f32_e32 v11, v9, v10
	v_fma_f32 v13, -v8, v11, v9
	v_fmac_f32_e32 v11, v13, v10
	v_fma_f32 v8, -v8, v11, v9
	v_div_fmas_f32 v17, v8, v10, v11
	ds_read2_b64 v[8:11], v3 offset1:34
	v_min_u32_e32 v13, 27, v0
	v_lshlrev_b32_e32 v18, 3, v13
	ds_read2_b64 v[12:15], v12 offset0:68 offset1:136
	s_waitcnt lgkmcnt(1)
	v_mul_f32_e32 v19, v7, v9
	v_mul_f32_e64 v7, v7, -v8
	v_fmac_f32_e32 v19, v8, v6
	v_fmac_f32_e32 v7, v9, v6
	v_div_fixup_f32 v6, v17, v16, 1.0
	v_mul_f32_e32 v17, v7, v6
	v_mul_f32_e32 v16, v6, v19
	;; [unrolled: 1-line block ×3, first 2 shown]
	v_mul_f32_e64 v7, v17, -v4
	v_fma_f32 v8, -v4, v16, v6
	v_fma_f32 v9, -v5, v16, v7
	ds_read2_b64 v[4:7], v18 offset0:4 offset1:38
	s_waitcnt lgkmcnt(1)
	v_mul_f32_e64 v19, v17, -v13
	v_mul_f32_e32 v20, v17, v12
	v_fmac_f32_e32 v19, v12, v16
	v_fmac_f32_e32 v20, v13, v16
	s_waitcnt lgkmcnt(0)
	v_mul_f32_e32 v12, v7, v7
	v_fmac_f32_e32 v12, v6, v6
	v_div_scale_f32 v13, s[0:1], v12, v12, 1.0
	v_mul_f32_e64 v21, v17, -v15
	v_mul_f32_e32 v17, v17, v14
	v_fmac_f32_e32 v21, v14, v16
	v_div_scale_f32 v14, vcc, 1.0, v12, 1.0
	v_fmac_f32_e32 v17, v15, v16
	v_rcp_f32_e32 v15, v13
	v_fma_f32 v16, -v13, v15, 1.0
	v_fmac_f32_e32 v15, v16, v15
	v_mul_f32_e32 v16, v14, v15
	v_fma_f32 v22, -v13, v16, v14
	v_fmac_f32_e32 v16, v22, v15
	v_fma_f32 v13, -v13, v16, v14
	v_div_fmas_f32 v13, v13, v15, v16
	v_div_fixup_f32 v16, v13, v12, 1.0
	ds_read2_b64 v[12:15], v3 offset0:68 offset1:136
	s_waitcnt lgkmcnt(0)
	v_mul_f32_e32 v22, v7, v13
	v_mul_f32_e64 v7, v7, -v12
	v_fmac_f32_e32 v22, v12, v6
	v_fmac_f32_e32 v7, v13, v6
	v_mul_f32_e32 v22, v16, v22
	v_mul_f32_e32 v16, v7, v16
	v_mul_f32_e64 v23, v16, -v5
	v_mul_f32_e32 v24, v16, v4
	v_fmac_f32_e32 v23, v4, v22
	v_fmac_f32_e32 v24, v5, v22
	ds_read2_b64 v[4:7], v18 offset0:72 offset1:140
	s_waitcnt lgkmcnt(0)
	; wave barrier
	v_mul_f32_e32 v12, v16, v5
	v_fma_f32 v12, -v4, v22, v12
	v_mul_f32_e64 v4, v16, -v4
	v_fma_f32 v13, -v5, v22, v4
	v_mul_f32_e64 v18, v16, -v7
	v_mul_f32_e32 v16, v16, v6
	v_sub_f32_e32 v4, v10, v19
	v_sub_f32_e32 v5, v11, v20
	v_fmac_f32_e32 v18, v6, v22
	v_fmac_f32_e32 v16, v7, v22
	v_sub_f32_e32 v6, v14, v21
	v_sub_f32_e32 v7, v15, v17
	;; [unrolled: 1-line block ×6, first 2 shown]
	ds_write2_b64 v3, v[8:9], v[4:5] offset1:34
	ds_write2_b64 v3, v[12:13], v[6:7] offset0:68 offset1:136
	v_sub_u32_e64 v4, v0, 8 clamp
	v_lshlrev_b32_e32 v12, 3, v4
	s_waitcnt lgkmcnt(0)
	; wave barrier
	ds_read2_b64 v[4:7], v12 offset1:34
	s_waitcnt lgkmcnt(0)
	v_mul_f32_e32 v13, v7, v7
	v_fmac_f32_e32 v13, v6, v6
	v_div_scale_f32 v8, s[0:1], v13, v13, 1.0
	v_div_scale_f32 v9, vcc, 1.0, v13, 1.0
	v_rcp_f32_e32 v10, v8
	v_fma_f32 v11, -v8, v10, 1.0
	v_fmac_f32_e32 v10, v11, v10
	v_mul_f32_e32 v11, v9, v10
	v_fma_f32 v14, -v8, v11, v9
	v_fmac_f32_e32 v11, v14, v10
	v_fma_f32 v8, -v8, v11, v9
	v_div_fmas_f32 v14, v8, v10, v11
	ds_read2_b64 v[8:11], v3 offset1:34
	v_div_fixup_f32 v13, v14, v13, 1.0
	s_waitcnt lgkmcnt(0)
	v_mul_f32_e32 v14, v7, v9
	v_mul_f32_e64 v7, v7, -v8
	v_fmac_f32_e32 v14, v8, v6
	v_fmac_f32_e32 v7, v9, v6
	v_mul_f32_e32 v14, v13, v14
	v_mul_f32_e32 v13, v7, v13
	ds_read2_b64 v[6:9], v12 offset0:68 offset1:136
	v_mul_f32_e32 v12, v13, v5
	v_fma_f32 v16, -v4, v14, v12
	v_mul_f32_e64 v4, v13, -v4
	v_fma_f32 v17, -v5, v14, v4
	v_min_u32_e32 v4, 23, v0
	s_waitcnt lgkmcnt(0)
	v_mul_f32_e64 v18, v13, -v7
	v_mul_f32_e32 v19, v13, v6
	v_lshlrev_b32_e32 v20, 3, v4
	v_fmac_f32_e32 v18, v6, v14
	v_fmac_f32_e32 v19, v7, v14
	ds_read2_b64 v[4:7], v20 offset0:8 offset1:42
	v_mul_f32_e64 v21, v13, -v9
	v_fmac_f32_e32 v21, v8, v14
	v_mul_f32_e32 v22, v13, v8
	v_fmac_f32_e32 v22, v9, v14
	s_waitcnt lgkmcnt(0)
	v_mul_f32_e32 v8, v7, v7
	v_fmac_f32_e32 v8, v6, v6
	v_div_scale_f32 v9, s[0:1], v8, v8, 1.0
	v_div_scale_f32 v12, vcc, 1.0, v8, 1.0
	v_rcp_f32_e32 v13, v9
	v_fma_f32 v14, -v9, v13, 1.0
	v_fmac_f32_e32 v13, v14, v13
	v_mul_f32_e32 v14, v12, v13
	v_fma_f32 v15, -v9, v14, v12
	v_fmac_f32_e32 v14, v15, v13
	v_fma_f32 v9, -v9, v14, v12
	v_div_fmas_f32 v9, v9, v13, v14
	ds_read2_b64 v[12:15], v3 offset0:68 offset1:136
	v_cmp_gt_u32_e32 vcc, 16, v0
	v_div_fixup_f32 v8, v9, v8, 1.0
	s_waitcnt lgkmcnt(0)
	v_mul_f32_e32 v9, v7, v13
	v_mul_f32_e64 v7, v7, -v12
	v_fmac_f32_e32 v7, v13, v6
	v_fmac_f32_e32 v9, v12, v6
	v_mul_f32_e32 v12, v7, v8
	v_mul_f32_e32 v23, v8, v9
	v_mul_f32_e64 v13, v12, -v5
	v_mul_f32_e32 v24, v12, v4
	v_fmac_f32_e32 v13, v4, v23
	v_fmac_f32_e32 v24, v5, v23
	ds_read2_b64 v[4:7], v20 offset0:76 offset1:144
	s_waitcnt lgkmcnt(0)
	; wave barrier
	v_mul_f32_e32 v8, v12, v5
	v_fma_f32 v8, -v4, v23, v8
	v_mul_f32_e64 v4, v12, -v4
	v_fma_f32 v9, -v5, v23, v4
	v_mul_f32_e64 v20, v12, -v7
	v_mul_f32_e32 v12, v12, v6
	v_sub_f32_e32 v4, v10, v18
	v_sub_f32_e32 v5, v11, v19
	v_fmac_f32_e32 v20, v6, v23
	v_fmac_f32_e32 v12, v7, v23
	v_sub_f32_e32 v6, v14, v21
	v_sub_f32_e32 v7, v15, v22
	;; [unrolled: 1-line block ×6, first 2 shown]
	ds_write2_b64 v3, v[16:17], v[4:5] offset1:34
	ds_write2_b64 v3, v[8:9], v[6:7] offset0:68 offset1:136
	s_waitcnt lgkmcnt(0)
	; wave barrier
	s_and_saveexec_b64 s[0:1], vcc
	s_cbranch_execz .LBB54_2
; %bb.1:
	v_add_u32_e32 v0, 0x110, v3
	ds_read2_b64 v[4:7], v0 offset1:16
	v_add_u32_e32 v0, 0x220, v3
	ds_read_b64 v[12:13], v0
	ds_read_b64 v[14:15], v3 offset:128
	s_waitcnt lgkmcnt(2)
	v_mul_f32_e32 v8, v5, v6
	v_mul_f32_e64 v0, v5, -v7
	s_waitcnt lgkmcnt(0)
	v_mul_f32_e32 v10, v15, v12
	v_fmac_f32_e32 v8, v7, v4
	v_mul_f32_e64 v9, v15, -v13
	v_fmac_f32_e32 v10, v13, v14
	v_fmac_f32_e32 v0, v6, v4
	;; [unrolled: 1-line block ×3, first 2 shown]
	v_sub_f32_e32 v16, v8, v10
	v_sub_f32_e32 v0, v0, v9
	v_mul_f32_e32 v17, v16, v16
	v_fmac_f32_e32 v17, v0, v0
	v_div_scale_f32 v18, s[2:3], v17, v17, 1.0
	v_div_scale_f32 v19, vcc, 1.0, v17, 1.0
	v_add_u32_e32 v8, 0x440, v3
	ds_read2_b64 v[8:11], v8 offset1:16
	s_waitcnt lgkmcnt(0)
	v_mul_f32_e32 v22, v9, v6
	v_mul_f32_e64 v21, v9, -v7
	v_mul_f32_e64 v23, v11, -v13
	v_fmac_f32_e32 v22, v7, v8
	v_fmac_f32_e32 v21, v6, v8
	;; [unrolled: 1-line block ×3, first 2 shown]
	v_rcp_f32_e32 v20, v18
	v_sub_f32_e32 v6, v21, v23
	v_fma_f32 v24, -v18, v20, 1.0
	v_fmac_f32_e32 v20, v24, v20
	v_mul_f32_e32 v24, v19, v20
	v_fma_f32 v25, -v18, v24, v19
	v_fmac_f32_e32 v24, v25, v20
	v_fma_f32 v18, -v18, v24, v19
	v_div_fmas_f32 v18, v18, v20, v24
	v_mul_f32_e32 v19, v11, v12
	v_mul_f32_e64 v20, v5, -v11
	v_mul_f32_e32 v24, v5, v10
	v_fmac_f32_e32 v19, v13, v10
	v_fmac_f32_e32 v20, v10, v4
	v_fmac_f32_e32 v24, v11, v4
	v_fma_f32 v4, 0, v16, v0
	v_fma_f32 v0, v0, 0, -v16
	v_sub_f32_e32 v7, v22, v19
	v_mul_f32_e64 v25, v15, -v9
	v_fmac_f32_e32 v25, v8, v14
	v_div_fixup_f32 v5, v18, v17, 1.0
	v_mul_f32_e32 v0, v0, v5
	v_mul_f32_e32 v10, v4, v5
	v_mul_f32_e64 v4, v0, -v7
	v_mul_f32_e32 v5, v0, v6
	v_fmac_f32_e32 v4, v6, v10
	v_mul_f32_e32 v6, v15, v8
	v_fmac_f32_e32 v6, v9, v14
	v_sub_f32_e32 v8, v24, v6
	v_fmac_f32_e32 v5, v7, v10
	v_sub_f32_e32 v7, v20, v25
	v_mul_f32_e64 v6, v0, -v8
	v_fmac_f32_e32 v6, v7, v10
	v_mul_f32_e32 v7, v0, v7
	v_fmac_f32_e32 v7, v8, v10
	ds_write2_b64 v3, v[4:5], v[6:7] offset0:102 offset1:118
.LBB54_2:
	s_or_b64 exec, exec, s[0:1]
	s_waitcnt lgkmcnt(0)
	; wave barrier
	ds_read_b64 v[3:4], v3 offset:816
	s_waitcnt lgkmcnt(0)
	global_store_dwordx2 v[1:2], v[3:4], off
	s_endpgm
	.section	.rodata,"a",@progbits
	.p2align	6, 0x0
	.amdhsa_kernel _ZN9rocsparseL35gtsv_nopivot_pcr_pow2_shared_kernelILj32E21rocsparse_complex_numIfEEEviiiPKT0_S5_S5_PS3_
		.amdhsa_group_segment_fixed_size 1352
		.amdhsa_private_segment_fixed_size 0
		.amdhsa_kernarg_size 48
		.amdhsa_user_sgpr_count 6
		.amdhsa_user_sgpr_private_segment_buffer 1
		.amdhsa_user_sgpr_dispatch_ptr 0
		.amdhsa_user_sgpr_queue_ptr 0
		.amdhsa_user_sgpr_kernarg_segment_ptr 1
		.amdhsa_user_sgpr_dispatch_id 0
		.amdhsa_user_sgpr_flat_scratch_init 0
		.amdhsa_user_sgpr_private_segment_size 0
		.amdhsa_uses_dynamic_stack 0
		.amdhsa_system_sgpr_private_segment_wavefront_offset 0
		.amdhsa_system_sgpr_workgroup_id_x 1
		.amdhsa_system_sgpr_workgroup_id_y 0
		.amdhsa_system_sgpr_workgroup_id_z 0
		.amdhsa_system_sgpr_workgroup_info 0
		.amdhsa_system_vgpr_workitem_id 0
		.amdhsa_next_free_vgpr 26
		.amdhsa_next_free_sgpr 16
		.amdhsa_reserve_vcc 1
		.amdhsa_reserve_flat_scratch 0
		.amdhsa_float_round_mode_32 0
		.amdhsa_float_round_mode_16_64 0
		.amdhsa_float_denorm_mode_32 3
		.amdhsa_float_denorm_mode_16_64 3
		.amdhsa_dx10_clamp 1
		.amdhsa_ieee_mode 1
		.amdhsa_fp16_overflow 0
		.amdhsa_exception_fp_ieee_invalid_op 0
		.amdhsa_exception_fp_denorm_src 0
		.amdhsa_exception_fp_ieee_div_zero 0
		.amdhsa_exception_fp_ieee_overflow 0
		.amdhsa_exception_fp_ieee_underflow 0
		.amdhsa_exception_fp_ieee_inexact 0
		.amdhsa_exception_int_div_zero 0
	.end_amdhsa_kernel
	.section	.text._ZN9rocsparseL35gtsv_nopivot_pcr_pow2_shared_kernelILj32E21rocsparse_complex_numIfEEEviiiPKT0_S5_S5_PS3_,"axG",@progbits,_ZN9rocsparseL35gtsv_nopivot_pcr_pow2_shared_kernelILj32E21rocsparse_complex_numIfEEEviiiPKT0_S5_S5_PS3_,comdat
.Lfunc_end54:
	.size	_ZN9rocsparseL35gtsv_nopivot_pcr_pow2_shared_kernelILj32E21rocsparse_complex_numIfEEEviiiPKT0_S5_S5_PS3_, .Lfunc_end54-_ZN9rocsparseL35gtsv_nopivot_pcr_pow2_shared_kernelILj32E21rocsparse_complex_numIfEEEviiiPKT0_S5_S5_PS3_
                                        ; -- End function
	.set _ZN9rocsparseL35gtsv_nopivot_pcr_pow2_shared_kernelILj32E21rocsparse_complex_numIfEEEviiiPKT0_S5_S5_PS3_.num_vgpr, 26
	.set _ZN9rocsparseL35gtsv_nopivot_pcr_pow2_shared_kernelILj32E21rocsparse_complex_numIfEEEviiiPKT0_S5_S5_PS3_.num_agpr, 0
	.set _ZN9rocsparseL35gtsv_nopivot_pcr_pow2_shared_kernelILj32E21rocsparse_complex_numIfEEEviiiPKT0_S5_S5_PS3_.numbered_sgpr, 16
	.set _ZN9rocsparseL35gtsv_nopivot_pcr_pow2_shared_kernelILj32E21rocsparse_complex_numIfEEEviiiPKT0_S5_S5_PS3_.num_named_barrier, 0
	.set _ZN9rocsparseL35gtsv_nopivot_pcr_pow2_shared_kernelILj32E21rocsparse_complex_numIfEEEviiiPKT0_S5_S5_PS3_.private_seg_size, 0
	.set _ZN9rocsparseL35gtsv_nopivot_pcr_pow2_shared_kernelILj32E21rocsparse_complex_numIfEEEviiiPKT0_S5_S5_PS3_.uses_vcc, 1
	.set _ZN9rocsparseL35gtsv_nopivot_pcr_pow2_shared_kernelILj32E21rocsparse_complex_numIfEEEviiiPKT0_S5_S5_PS3_.uses_flat_scratch, 0
	.set _ZN9rocsparseL35gtsv_nopivot_pcr_pow2_shared_kernelILj32E21rocsparse_complex_numIfEEEviiiPKT0_S5_S5_PS3_.has_dyn_sized_stack, 0
	.set _ZN9rocsparseL35gtsv_nopivot_pcr_pow2_shared_kernelILj32E21rocsparse_complex_numIfEEEviiiPKT0_S5_S5_PS3_.has_recursion, 0
	.set _ZN9rocsparseL35gtsv_nopivot_pcr_pow2_shared_kernelILj32E21rocsparse_complex_numIfEEEviiiPKT0_S5_S5_PS3_.has_indirect_call, 0
	.section	.AMDGPU.csdata,"",@progbits
; Kernel info:
; codeLenInByte = 2508
; TotalNumSgprs: 20
; NumVgprs: 26
; ScratchSize: 0
; MemoryBound: 0
; FloatMode: 240
; IeeeMode: 1
; LDSByteSize: 1352 bytes/workgroup (compile time only)
; SGPRBlocks: 2
; VGPRBlocks: 6
; NumSGPRsForWavesPerEU: 20
; NumVGPRsForWavesPerEU: 26
; Occupancy: 9
; WaveLimiterHint : 0
; COMPUTE_PGM_RSRC2:SCRATCH_EN: 0
; COMPUTE_PGM_RSRC2:USER_SGPR: 6
; COMPUTE_PGM_RSRC2:TRAP_HANDLER: 0
; COMPUTE_PGM_RSRC2:TGID_X_EN: 1
; COMPUTE_PGM_RSRC2:TGID_Y_EN: 0
; COMPUTE_PGM_RSRC2:TGID_Z_EN: 0
; COMPUTE_PGM_RSRC2:TIDIG_COMP_CNT: 0
	.section	.text._ZN9rocsparseL35gtsv_nopivot_pcr_pow2_shared_kernelILj64E21rocsparse_complex_numIfEEEviiiPKT0_S5_S5_PS3_,"axG",@progbits,_ZN9rocsparseL35gtsv_nopivot_pcr_pow2_shared_kernelILj64E21rocsparse_complex_numIfEEEviiiPKT0_S5_S5_PS3_,comdat
	.globl	_ZN9rocsparseL35gtsv_nopivot_pcr_pow2_shared_kernelILj64E21rocsparse_complex_numIfEEEviiiPKT0_S5_S5_PS3_ ; -- Begin function _ZN9rocsparseL35gtsv_nopivot_pcr_pow2_shared_kernelILj64E21rocsparse_complex_numIfEEEviiiPKT0_S5_S5_PS3_
	.p2align	8
	.type	_ZN9rocsparseL35gtsv_nopivot_pcr_pow2_shared_kernelILj64E21rocsparse_complex_numIfEEEviiiPKT0_S5_S5_PS3_,@function
_ZN9rocsparseL35gtsv_nopivot_pcr_pow2_shared_kernelILj64E21rocsparse_complex_numIfEEEviiiPKT0_S5_S5_PS3_: ; @_ZN9rocsparseL35gtsv_nopivot_pcr_pow2_shared_kernelILj64E21rocsparse_complex_numIfEEEviiiPKT0_S5_S5_PS3_
; %bb.0:
	s_load_dwordx8 s[8:15], s[4:5], 0x10
	s_load_dword s0, s[4:5], 0x8
	v_mov_b32_e32 v2, 0
	v_lshlrev_b32_e32 v3, 3, v0
	v_sub_u32_e64 v13, v0, 1 clamp
	s_waitcnt lgkmcnt(0)
	v_mov_b32_e32 v4, s15
	s_mul_i32 s0, s0, s6
	v_add_u32_e32 v1, s0, v0
	v_lshlrev_b64 v[1:2], 3, v[1:2]
	global_load_dwordx2 v[5:6], v3, s[8:9]
	global_load_dwordx2 v[7:8], v3, s[10:11]
	;; [unrolled: 1-line block ×3, first 2 shown]
	v_add_co_u32_e32 v1, vcc, s14, v1
	v_addc_co_u32_e32 v2, vcc, v4, v2, vcc
	global_load_dwordx2 v[11:12], v[1:2], off
	v_lshlrev_b32_e32 v13, 3, v13
	v_add_u32_e32 v4, 0x400, v3
	v_sub_u32_e64 v15, v0, 2 clamp
	v_lshlrev_b32_e32 v28, 3, v15
	v_add_u32_e32 v21, 0x400, v13
	s_waitcnt vmcnt(2)
	ds_write2_b64 v3, v[5:6], v[7:8] offset1:66
	s_waitcnt vmcnt(0)
	ds_write2_b64 v4, v[9:10], v[11:12] offset0:4 offset1:136
	s_waitcnt lgkmcnt(0)
	; wave barrier
	ds_read2_b64 v[5:8], v13 offset1:66
	v_min_u32_e32 v9, 62, v0
	v_lshlrev_b32_e32 v14, 3, v9
	ds_read2_b64 v[9:12], v14 offset0:1 offset1:67
	v_add_u32_e32 v29, 0x400, v14
	s_waitcnt lgkmcnt(1)
	v_mul_f32_e32 v25, v8, v8
	v_fmac_f32_e32 v25, v7, v7
	v_div_scale_f32 v17, s[0:1], v25, v25, 1.0
	s_waitcnt lgkmcnt(0)
	v_mul_f32_e32 v26, v12, v12
	v_fmac_f32_e32 v26, v11, v11
	v_div_scale_f32 v27, s[0:1], v26, v26, 1.0
	v_div_scale_f32 v18, vcc, 1.0, v25, 1.0
	v_div_scale_f32 v30, s[0:1], 1.0, v26, 1.0
	ds_read2_b64 v[13:16], v3 offset1:66
	s_waitcnt lgkmcnt(0)
	v_mul_f32_e32 v33, v8, v14
	v_rcp_f32_e32 v19, v17
	v_mul_f32_e64 v8, v8, -v13
	v_fmac_f32_e32 v33, v13, v7
	v_fmac_f32_e32 v8, v14, v7
	v_fma_f32 v20, -v17, v19, 1.0
	v_fmac_f32_e32 v19, v20, v19
	v_rcp_f32_e32 v32, v27
	v_mul_f32_e32 v20, v18, v19
	v_fma_f32 v22, -v17, v20, v18
	v_fmac_f32_e32 v20, v22, v19
	v_fma_f32 v17, -v17, v20, v18
	v_fma_f32 v34, -v27, v32, 1.0
	v_div_fmas_f32 v31, v17, v19, v20
	v_fmac_f32_e32 v32, v34, v32
	v_mul_f32_e32 v34, v30, v32
	v_fma_f32 v35, -v27, v34, v30
	v_fmac_f32_e32 v34, v35, v32
	v_fma_f32 v13, -v27, v34, v30
	s_mov_b64 vcc, s[0:1]
	v_div_fmas_f32 v27, v13, v32, v34
	ds_read2_b64 v[17:20], v4 offset0:4 offset1:136
	ds_read2_b64 v[21:24], v21 offset0:4 offset1:136
	v_div_fixup_f32 v7, v31, v25, 1.0
	v_mul_f32_e32 v30, v8, v7
	v_mul_f32_e32 v25, v7, v33
	;; [unrolled: 1-line block ×3, first 2 shown]
	v_mul_f32_e64 v8, v30, -v5
	v_fma_f32 v13, -v5, v25, v7
	v_fma_f32 v14, -v6, v25, v8
	ds_read2_b64 v[5:8], v29 offset0:5 offset1:137
	s_waitcnt lgkmcnt(2)
	v_mul_f32_e32 v29, v12, v18
	v_mul_f32_e64 v12, v12, -v17
	v_fmac_f32_e32 v29, v17, v11
	v_fmac_f32_e32 v12, v18, v11
	v_div_fixup_f32 v11, v27, v26, 1.0
	v_mul_f32_e32 v17, v11, v29
	v_mul_f32_e32 v11, v12, v11
	s_waitcnt lgkmcnt(1)
	v_mul_f32_e64 v12, v30, -v22
	v_mul_f32_e32 v18, v30, v21
	v_mul_f32_e64 v26, v30, -v24
	v_mul_f32_e32 v27, v30, v23
	v_fmac_f32_e32 v12, v21, v25
	v_fmac_f32_e32 v18, v22, v25
	v_mul_f32_e64 v21, v11, -v10
	v_mul_f32_e32 v22, v11, v9
	v_fmac_f32_e32 v26, v23, v25
	v_fmac_f32_e32 v27, v24, v25
	s_waitcnt lgkmcnt(0)
	v_mul_f32_e64 v23, v11, -v8
	v_mul_f32_e32 v24, v11, v7
	v_mul_f32_e32 v25, v11, v6
	v_mul_f32_e64 v11, v11, -v5
	v_sub_f32_e32 v12, v15, v12
	v_sub_f32_e32 v15, v16, v18
	v_fmac_f32_e32 v21, v9, v17
	v_fmac_f32_e32 v22, v10, v17
	v_sub_f32_e32 v9, v19, v26
	v_sub_f32_e32 v10, v20, v27
	v_fmac_f32_e32 v23, v7, v17
	v_fmac_f32_e32 v24, v8, v17
	v_fma_f32 v5, -v5, v17, v25
	v_fma_f32 v6, -v6, v17, v11
	v_sub_f32_e32 v7, v12, v21
	v_sub_f32_e32 v8, v15, v22
	; wave barrier
	v_sub_f32_e32 v9, v9, v23
	v_sub_f32_e32 v10, v10, v24
	ds_write2_b64 v3, v[13:14], v[7:8] offset1:66
	ds_write2_b64 v4, v[5:6], v[9:10] offset0:4 offset1:136
	s_waitcnt lgkmcnt(0)
	; wave barrier
	ds_read2_b64 v[5:8], v28 offset1:66
	v_min_u32_e32 v9, 61, v0
	v_lshlrev_b32_e32 v13, 3, v9
	ds_read2_b64 v[9:12], v13 offset0:2 offset1:68
	v_add_u32_e32 v21, 0x400, v28
	s_waitcnt lgkmcnt(1)
	v_mul_f32_e32 v25, v8, v8
	v_fmac_f32_e32 v25, v7, v7
	v_div_scale_f32 v17, s[0:1], v25, v25, 1.0
	s_waitcnt lgkmcnt(0)
	v_mul_f32_e32 v27, v12, v12
	v_fmac_f32_e32 v27, v11, v11
	v_div_scale_f32 v28, s[0:1], v27, v27, 1.0
	v_div_scale_f32 v18, vcc, 1.0, v25, 1.0
	v_div_scale_f32 v29, s[0:1], 1.0, v27, 1.0
	v_add_u32_e32 v26, 0x400, v13
	ds_read2_b64 v[13:16], v3 offset1:66
	v_rcp_f32_e32 v19, v17
	s_waitcnt lgkmcnt(0)
	v_mul_f32_e32 v31, v8, v14
	v_mul_f32_e64 v8, v8, -v13
	v_fmac_f32_e32 v31, v13, v7
	v_fma_f32 v20, -v17, v19, 1.0
	v_fmac_f32_e32 v19, v20, v19
	v_rcp_f32_e32 v32, v28
	v_mul_f32_e32 v20, v18, v19
	v_fma_f32 v22, -v17, v20, v18
	v_fmac_f32_e32 v20, v22, v19
	v_fma_f32 v17, -v17, v20, v18
	v_fmac_f32_e32 v8, v14, v7
	v_fma_f32 v7, -v28, v32, 1.0
	v_div_fmas_f32 v30, v17, v19, v20
	v_fmac_f32_e32 v32, v7, v32
	v_mul_f32_e32 v7, v29, v32
	v_fma_f32 v13, -v28, v7, v29
	v_fmac_f32_e32 v7, v13, v32
	v_fma_f32 v13, -v28, v7, v29
	s_mov_b64 vcc, s[0:1]
	v_div_fmas_f32 v7, v13, v32, v7
	ds_read2_b64 v[17:20], v4 offset0:4 offset1:136
	ds_read2_b64 v[21:24], v21 offset0:4 offset1:136
	v_div_fixup_f32 v13, v30, v25, 1.0
	v_mul_f32_e32 v8, v8, v13
	v_mul_f32_e32 v14, v13, v31
	s_waitcnt lgkmcnt(0)
	v_mul_f32_e64 v13, v8, -v22
	v_mul_f32_e32 v25, v8, v21
	v_mul_f32_e64 v28, v8, -v24
	v_mul_f32_e32 v29, v8, v23
	v_fmac_f32_e32 v13, v21, v14
	v_fmac_f32_e32 v25, v22, v14
	;; [unrolled: 1-line block ×4, first 2 shown]
	ds_read2_b64 v[21:24], v26 offset0:6 offset1:138
	v_mul_f32_e32 v26, v12, v18
	v_mul_f32_e64 v12, v12, -v17
	v_fmac_f32_e32 v12, v18, v11
	v_div_fixup_f32 v7, v7, v27, 1.0
	v_fmac_f32_e32 v26, v17, v11
	v_mul_f32_e32 v12, v12, v7
	v_mul_f32_e32 v17, v7, v26
	;; [unrolled: 1-line block ×3, first 2 shown]
	v_mul_f32_e64 v11, v8, -v5
	v_mul_f32_e64 v8, v12, -v10
	v_mul_f32_e32 v18, v12, v9
	v_sub_f32_e32 v13, v15, v13
	v_sub_f32_e32 v15, v16, v25
	s_waitcnt lgkmcnt(0)
	v_mul_f32_e64 v16, v12, -v24
	v_mul_f32_e32 v25, v12, v23
	v_fmac_f32_e32 v8, v9, v17
	v_fmac_f32_e32 v18, v10, v17
	v_fma_f32 v5, -v5, v14, v7
	v_sub_f32_e32 v9, v19, v28
	v_sub_f32_e32 v10, v20, v29
	v_fmac_f32_e32 v16, v23, v17
	v_fmac_f32_e32 v25, v24, v17
	v_sub_f32_e32 v7, v13, v8
	v_sub_f32_e32 v8, v15, v18
	v_fma_f32 v6, -v6, v14, v11
	v_mul_f32_e32 v11, v12, v22
	v_mul_f32_e64 v12, v12, -v21
	v_sub_f32_e32 v9, v9, v16
	v_sub_f32_e32 v10, v10, v25
	v_fma_f32 v11, -v21, v17, v11
	v_fma_f32 v12, -v22, v17, v12
	; wave barrier
	ds_write2_b64 v3, v[5:6], v[7:8] offset1:66
	ds_write2_b64 v4, v[11:12], v[9:10] offset0:4 offset1:136
	v_sub_u32_e64 v5, v0, 4 clamp
	v_lshlrev_b32_e32 v21, 3, v5
	s_waitcnt lgkmcnt(0)
	; wave barrier
	ds_read2_b64 v[5:8], v21 offset1:66
	v_min_u32_e32 v9, 59, v0
	v_lshlrev_b32_e32 v25, 3, v9
	ds_read2_b64 v[9:12], v25 offset0:4 offset1:70
	s_waitcnt lgkmcnt(1)
	v_mul_f32_e32 v17, v8, v8
	v_fmac_f32_e32 v17, v7, v7
	v_div_scale_f32 v13, s[0:1], v17, v17, 1.0
	v_div_scale_f32 v14, vcc, 1.0, v17, 1.0
	s_waitcnt lgkmcnt(0)
	v_mul_f32_e32 v22, v12, v12
	v_fmac_f32_e32 v22, v11, v11
	v_div_scale_f32 v15, s[0:1], v22, v22, 1.0
	v_div_scale_f32 v16, s[0:1], 1.0, v22, 1.0
	v_rcp_f32_e32 v18, v13
	v_fma_f32 v19, -v13, v18, 1.0
	v_fmac_f32_e32 v18, v19, v18
	v_mul_f32_e32 v19, v14, v18
	v_fma_f32 v20, -v13, v19, v14
	v_fmac_f32_e32 v19, v20, v18
	v_rcp_f32_e32 v20, v15
	v_fma_f32 v13, -v13, v19, v14
	v_div_fmas_f32 v18, v13, v18, v19
	s_mov_b64 vcc, s[0:1]
	v_fma_f32 v13, -v15, v20, 1.0
	v_fmac_f32_e32 v20, v13, v20
	v_mul_f32_e32 v13, v16, v20
	v_fma_f32 v14, -v15, v13, v16
	v_fmac_f32_e32 v13, v14, v20
	v_fma_f32 v14, -v15, v13, v16
	v_div_fmas_f32 v23, v14, v20, v13
	ds_read2_b64 v[13:16], v3 offset1:66
	s_waitcnt lgkmcnt(0)
	v_mul_f32_e32 v19, v8, v14
	v_fmac_f32_e32 v19, v13, v7
	v_div_fixup_f32 v24, v18, v17, 1.0
	v_mul_f32_e32 v26, v24, v19
	ds_read2_b64 v[17:20], v4 offset0:4 offset1:136
	v_mul_f32_e64 v8, v8, -v13
	v_fmac_f32_e32 v8, v14, v7
	v_add_u32_e32 v13, 0x400, v21
	v_mul_f32_e32 v14, v8, v24
	s_waitcnt lgkmcnt(0)
	v_mul_f32_e32 v8, v12, v18
	v_div_fixup_f32 v7, v23, v22, 1.0
	ds_read2_b64 v[21:24], v13 offset0:4 offset1:136
	v_fmac_f32_e32 v8, v17, v11
	v_mul_f32_e32 v27, v7, v8
	v_mul_f32_e64 v8, v12, -v17
	v_fmac_f32_e32 v8, v18, v11
	v_mul_f32_e32 v17, v8, v7
	s_waitcnt lgkmcnt(0)
	v_mul_f32_e64 v7, v14, -v22
	v_fmac_f32_e32 v7, v21, v26
	v_mul_f32_e32 v8, v14, v21
	v_mul_f32_e64 v11, v17, -v10
	v_fmac_f32_e32 v8, v22, v26
	v_sub_f32_e32 v7, v15, v7
	v_fmac_f32_e32 v11, v9, v27
	v_mul_f32_e32 v9, v17, v9
	v_sub_f32_e32 v8, v16, v8
	v_fmac_f32_e32 v9, v10, v27
	v_sub_f32_e32 v11, v7, v11
	v_add_u32_e32 v7, 0x400, v25
	v_sub_f32_e32 v12, v8, v9
	ds_read2_b64 v[7:10], v7 offset0:8 offset1:140
	v_mul_f32_e64 v13, v14, -v24
	v_fmac_f32_e32 v13, v23, v26
	v_sub_f32_e32 v13, v19, v13
	v_mul_f32_e32 v15, v14, v23
	s_waitcnt lgkmcnt(0)
	v_mul_f32_e64 v16, v17, -v10
	v_fmac_f32_e32 v16, v9, v27
	v_mul_f32_e32 v18, v17, v9
	v_sub_f32_e32 v9, v13, v16
	v_mul_f32_e32 v13, v14, v6
	v_fma_f32 v13, -v5, v26, v13
	v_mul_f32_e64 v5, v14, -v5
	v_fmac_f32_e32 v15, v24, v26
	v_fma_f32 v14, -v6, v26, v5
	v_mul_f32_e32 v5, v17, v8
	v_sub_f32_e32 v15, v20, v15
	v_fmac_f32_e32 v18, v10, v27
	v_fma_f32 v5, -v7, v27, v5
	v_mul_f32_e64 v6, v17, -v7
	v_sub_f32_e32 v10, v15, v18
	v_fma_f32 v6, -v8, v27, v6
	; wave barrier
	ds_write2_b64 v3, v[13:14], v[11:12] offset1:66
	ds_write2_b64 v4, v[5:6], v[9:10] offset0:4 offset1:136
	v_sub_u32_e64 v5, v0, 8 clamp
	v_lshlrev_b32_e32 v21, 3, v5
	s_waitcnt lgkmcnt(0)
	; wave barrier
	ds_read2_b64 v[5:8], v21 offset1:66
	v_min_u32_e32 v9, 55, v0
	v_lshlrev_b32_e32 v25, 3, v9
	ds_read2_b64 v[9:12], v25 offset0:8 offset1:74
	s_waitcnt lgkmcnt(1)
	v_mul_f32_e32 v17, v8, v8
	v_fmac_f32_e32 v17, v7, v7
	v_div_scale_f32 v13, s[0:1], v17, v17, 1.0
	v_div_scale_f32 v14, vcc, 1.0, v17, 1.0
	s_waitcnt lgkmcnt(0)
	v_mul_f32_e32 v22, v12, v12
	v_fmac_f32_e32 v22, v11, v11
	v_div_scale_f32 v15, s[0:1], v22, v22, 1.0
	v_div_scale_f32 v16, s[0:1], 1.0, v22, 1.0
	v_rcp_f32_e32 v18, v13
	v_fma_f32 v19, -v13, v18, 1.0
	v_fmac_f32_e32 v18, v19, v18
	v_mul_f32_e32 v19, v14, v18
	v_fma_f32 v20, -v13, v19, v14
	v_fmac_f32_e32 v19, v20, v18
	v_rcp_f32_e32 v20, v15
	v_fma_f32 v13, -v13, v19, v14
	v_div_fmas_f32 v18, v13, v18, v19
	s_mov_b64 vcc, s[0:1]
	v_fma_f32 v13, -v15, v20, 1.0
	v_fmac_f32_e32 v20, v13, v20
	v_mul_f32_e32 v13, v16, v20
	v_fma_f32 v14, -v15, v13, v16
	v_fmac_f32_e32 v13, v14, v20
	v_fma_f32 v14, -v15, v13, v16
	v_div_fmas_f32 v23, v14, v20, v13
	ds_read2_b64 v[13:16], v3 offset1:66
	v_div_fixup_f32 v24, v18, v17, 1.0
	s_waitcnt lgkmcnt(0)
	v_mul_f32_e32 v17, v8, v14
	v_fmac_f32_e32 v17, v13, v7
	v_mul_f32_e32 v26, v24, v17
	ds_read2_b64 v[17:20], v4 offset0:4 offset1:136
	v_mul_f32_e64 v8, v8, -v13
	v_fmac_f32_e32 v8, v14, v7
	v_add_u32_e32 v13, 0x400, v21
	v_mul_f32_e32 v14, v8, v24
	v_div_fixup_f32 v7, v23, v22, 1.0
	ds_read2_b64 v[21:24], v13 offset0:4 offset1:136
	s_waitcnt lgkmcnt(1)
	v_mul_f32_e32 v8, v12, v18
	v_fmac_f32_e32 v8, v17, v11
	v_mul_f32_e32 v27, v7, v8
	v_mul_f32_e64 v8, v12, -v17
	v_fmac_f32_e32 v8, v18, v11
	v_mul_f32_e32 v17, v8, v7
	s_waitcnt lgkmcnt(0)
	v_mul_f32_e64 v7, v14, -v22
	v_fmac_f32_e32 v7, v21, v26
	v_mul_f32_e32 v8, v14, v21
	v_mul_f32_e64 v11, v17, -v10
	v_fmac_f32_e32 v8, v22, v26
	v_sub_f32_e32 v7, v15, v7
	v_fmac_f32_e32 v11, v9, v27
	v_mul_f32_e32 v9, v17, v9
	v_sub_f32_e32 v8, v16, v8
	v_fmac_f32_e32 v9, v10, v27
	v_sub_f32_e32 v11, v7, v11
	v_add_u32_e32 v7, 0x400, v25
	v_sub_f32_e32 v12, v8, v9
	ds_read2_b64 v[7:10], v7 offset0:12 offset1:144
	v_mul_f32_e64 v13, v14, -v24
	v_fmac_f32_e32 v13, v23, v26
	v_sub_f32_e32 v13, v19, v13
	v_mul_f32_e32 v15, v14, v23
	s_waitcnt lgkmcnt(0)
	v_mul_f32_e64 v16, v17, -v10
	v_fmac_f32_e32 v16, v9, v27
	v_mul_f32_e32 v18, v17, v9
	v_sub_f32_e32 v9, v13, v16
	v_mul_f32_e32 v13, v14, v6
	v_fma_f32 v13, -v5, v26, v13
	v_mul_f32_e64 v5, v14, -v5
	v_fmac_f32_e32 v15, v24, v26
	v_fma_f32 v14, -v6, v26, v5
	v_mul_f32_e32 v5, v17, v8
	v_sub_f32_e32 v15, v20, v15
	v_fmac_f32_e32 v18, v10, v27
	v_fma_f32 v5, -v7, v27, v5
	v_mul_f32_e64 v6, v17, -v7
	v_sub_f32_e32 v10, v15, v18
	v_fma_f32 v6, -v8, v27, v6
	; wave barrier
	ds_write2_b64 v3, v[13:14], v[11:12] offset1:66
	ds_write2_b64 v4, v[5:6], v[9:10] offset0:4 offset1:136
	v_sub_u32_e64 v5, v0, 16 clamp
	v_lshlrev_b32_e32 v21, 3, v5
	s_waitcnt lgkmcnt(0)
	; wave barrier
	ds_read2_b64 v[5:8], v21 offset1:66
	v_min_u32_e32 v9, 47, v0
	v_lshlrev_b32_e32 v25, 3, v9
	ds_read2_b64 v[9:12], v25 offset0:16 offset1:82
	s_waitcnt lgkmcnt(1)
	v_mul_f32_e32 v17, v8, v8
	v_fmac_f32_e32 v17, v7, v7
	v_div_scale_f32 v13, s[0:1], v17, v17, 1.0
	v_div_scale_f32 v14, vcc, 1.0, v17, 1.0
	s_waitcnt lgkmcnt(0)
	v_mul_f32_e32 v22, v12, v12
	v_fmac_f32_e32 v22, v11, v11
	v_div_scale_f32 v15, s[0:1], v22, v22, 1.0
	v_div_scale_f32 v16, s[0:1], 1.0, v22, 1.0
	v_rcp_f32_e32 v18, v13
	v_fma_f32 v19, -v13, v18, 1.0
	v_fmac_f32_e32 v18, v19, v18
	v_mul_f32_e32 v19, v14, v18
	v_fma_f32 v20, -v13, v19, v14
	v_fmac_f32_e32 v19, v20, v18
	v_rcp_f32_e32 v20, v15
	v_fma_f32 v13, -v13, v19, v14
	v_div_fmas_f32 v18, v13, v18, v19
	s_mov_b64 vcc, s[0:1]
	v_fma_f32 v13, -v15, v20, 1.0
	v_fmac_f32_e32 v20, v13, v20
	v_mul_f32_e32 v13, v16, v20
	v_fma_f32 v14, -v15, v13, v16
	v_fmac_f32_e32 v13, v14, v20
	v_fma_f32 v14, -v15, v13, v16
	v_div_fmas_f32 v23, v14, v20, v13
	ds_read2_b64 v[13:16], v3 offset1:66
	v_cmp_gt_u32_e32 vcc, 32, v0
	v_div_fixup_f32 v24, v18, v17, 1.0
	s_waitcnt lgkmcnt(0)
	v_mul_f32_e32 v17, v8, v14
	v_fmac_f32_e32 v17, v13, v7
	v_mul_f32_e32 v26, v24, v17
	ds_read2_b64 v[17:20], v4 offset0:4 offset1:136
	v_mul_f32_e64 v8, v8, -v13
	v_fmac_f32_e32 v8, v14, v7
	v_add_u32_e32 v13, 0x400, v21
	v_mul_f32_e32 v14, v8, v24
	v_div_fixup_f32 v7, v23, v22, 1.0
	ds_read2_b64 v[21:24], v13 offset0:4 offset1:136
	s_waitcnt lgkmcnt(1)
	v_mul_f32_e32 v8, v12, v18
	v_fmac_f32_e32 v8, v17, v11
	v_mul_f32_e32 v27, v7, v8
	v_mul_f32_e64 v8, v12, -v17
	v_fmac_f32_e32 v8, v18, v11
	v_mul_f32_e32 v17, v8, v7
	s_waitcnt lgkmcnt(0)
	v_mul_f32_e64 v7, v14, -v22
	v_fmac_f32_e32 v7, v21, v26
	v_mul_f32_e32 v8, v14, v21
	v_mul_f32_e64 v11, v17, -v10
	v_fmac_f32_e32 v8, v22, v26
	v_sub_f32_e32 v7, v15, v7
	v_fmac_f32_e32 v11, v9, v27
	v_mul_f32_e32 v9, v17, v9
	v_sub_f32_e32 v8, v16, v8
	v_fmac_f32_e32 v9, v10, v27
	v_sub_f32_e32 v11, v7, v11
	v_add_u32_e32 v7, 0x400, v25
	v_sub_f32_e32 v12, v8, v9
	ds_read2_b64 v[7:10], v7 offset0:20 offset1:152
	v_mul_f32_e64 v13, v14, -v24
	v_fmac_f32_e32 v13, v23, v26
	v_sub_f32_e32 v13, v19, v13
	v_mul_f32_e32 v15, v14, v23
	s_waitcnt lgkmcnt(0)
	v_mul_f32_e64 v16, v17, -v10
	v_fmac_f32_e32 v16, v9, v27
	v_mul_f32_e32 v18, v17, v9
	v_sub_f32_e32 v9, v13, v16
	v_mul_f32_e32 v13, v14, v6
	v_fmac_f32_e32 v15, v24, v26
	v_fma_f32 v13, -v5, v26, v13
	v_mul_f32_e64 v5, v14, -v5
	v_sub_f32_e32 v15, v20, v15
	v_fmac_f32_e32 v18, v10, v27
	v_fma_f32 v14, -v6, v26, v5
	v_mul_f32_e32 v5, v17, v8
	v_mul_f32_e64 v6, v17, -v7
	v_sub_f32_e32 v10, v15, v18
	v_fma_f32 v5, -v7, v27, v5
	v_fma_f32 v6, -v8, v27, v6
	; wave barrier
	ds_write2_b64 v3, v[13:14], v[11:12] offset1:66
	ds_write2_b64 v4, v[5:6], v[9:10] offset0:4 offset1:136
	s_waitcnt lgkmcnt(0)
	; wave barrier
	s_and_saveexec_b64 s[0:1], vcc
	s_cbranch_execz .LBB55_2
; %bb.1:
	v_add_u32_e32 v0, 0x210, v3
	ds_read2_b64 v[4:7], v0 offset1:32
	v_add_u32_e32 v0, 0x420, v3
	ds_read_b64 v[12:13], v0
	ds_read_b64 v[14:15], v3 offset:256
	s_waitcnt lgkmcnt(2)
	v_mul_f32_e32 v8, v5, v6
	v_mul_f32_e64 v0, v5, -v7
	s_waitcnt lgkmcnt(0)
	v_mul_f32_e32 v10, v15, v12
	v_fmac_f32_e32 v8, v7, v4
	v_mul_f32_e64 v9, v15, -v13
	v_fmac_f32_e32 v10, v13, v14
	v_fmac_f32_e32 v0, v6, v4
	;; [unrolled: 1-line block ×3, first 2 shown]
	v_sub_f32_e32 v16, v8, v10
	v_sub_f32_e32 v0, v0, v9
	v_mul_f32_e32 v17, v16, v16
	v_fmac_f32_e32 v17, v0, v0
	v_div_scale_f32 v18, s[2:3], v17, v17, 1.0
	v_div_scale_f32 v19, vcc, 1.0, v17, 1.0
	v_add_u32_e32 v8, 0x840, v3
	ds_read2_b64 v[8:11], v8 offset1:32
	s_waitcnt lgkmcnt(0)
	v_mul_f32_e32 v22, v9, v6
	v_mul_f32_e64 v21, v9, -v7
	v_mul_f32_e64 v23, v11, -v13
	v_fmac_f32_e32 v22, v7, v8
	v_fmac_f32_e32 v21, v6, v8
	;; [unrolled: 1-line block ×3, first 2 shown]
	v_rcp_f32_e32 v20, v18
	v_sub_f32_e32 v6, v21, v23
	v_fma_f32 v24, -v18, v20, 1.0
	v_fmac_f32_e32 v20, v24, v20
	v_mul_f32_e32 v24, v19, v20
	v_fma_f32 v25, -v18, v24, v19
	v_fmac_f32_e32 v24, v25, v20
	v_fma_f32 v18, -v18, v24, v19
	v_div_fmas_f32 v18, v18, v20, v24
	v_mul_f32_e32 v19, v11, v12
	v_mul_f32_e64 v20, v5, -v11
	v_mul_f32_e32 v24, v5, v10
	v_fmac_f32_e32 v19, v13, v10
	v_fmac_f32_e32 v20, v10, v4
	;; [unrolled: 1-line block ×3, first 2 shown]
	v_fma_f32 v4, 0, v16, v0
	v_fma_f32 v0, v0, 0, -v16
	v_sub_f32_e32 v7, v22, v19
	v_mul_f32_e64 v25, v15, -v9
	v_fmac_f32_e32 v25, v8, v14
	v_div_fixup_f32 v5, v18, v17, 1.0
	v_mul_f32_e32 v0, v0, v5
	v_mul_f32_e32 v10, v4, v5
	v_mul_f32_e64 v4, v0, -v7
	v_mul_f32_e32 v5, v0, v6
	v_fmac_f32_e32 v4, v6, v10
	v_mul_f32_e32 v6, v15, v8
	v_fmac_f32_e32 v6, v9, v14
	v_sub_f32_e32 v8, v24, v6
	v_fmac_f32_e32 v5, v7, v10
	v_sub_f32_e32 v7, v20, v25
	v_mul_f32_e64 v6, v0, -v8
	v_fmac_f32_e32 v6, v7, v10
	v_mul_f32_e32 v7, v0, v7
	v_fmac_f32_e32 v7, v8, v10
	ds_write2_b64 v3, v[4:5], v[6:7] offset0:198 offset1:230
.LBB55_2:
	s_or_b64 exec, exec, s[0:1]
	s_waitcnt lgkmcnt(0)
	; wave barrier
	ds_read_b64 v[3:4], v3 offset:1584
	s_waitcnt lgkmcnt(0)
	global_store_dwordx2 v[1:2], v[3:4], off
	s_endpgm
	.section	.rodata,"a",@progbits
	.p2align	6, 0x0
	.amdhsa_kernel _ZN9rocsparseL35gtsv_nopivot_pcr_pow2_shared_kernelILj64E21rocsparse_complex_numIfEEEviiiPKT0_S5_S5_PS3_
		.amdhsa_group_segment_fixed_size 2632
		.amdhsa_private_segment_fixed_size 0
		.amdhsa_kernarg_size 48
		.amdhsa_user_sgpr_count 6
		.amdhsa_user_sgpr_private_segment_buffer 1
		.amdhsa_user_sgpr_dispatch_ptr 0
		.amdhsa_user_sgpr_queue_ptr 0
		.amdhsa_user_sgpr_kernarg_segment_ptr 1
		.amdhsa_user_sgpr_dispatch_id 0
		.amdhsa_user_sgpr_flat_scratch_init 0
		.amdhsa_user_sgpr_private_segment_size 0
		.amdhsa_uses_dynamic_stack 0
		.amdhsa_system_sgpr_private_segment_wavefront_offset 0
		.amdhsa_system_sgpr_workgroup_id_x 1
		.amdhsa_system_sgpr_workgroup_id_y 0
		.amdhsa_system_sgpr_workgroup_id_z 0
		.amdhsa_system_sgpr_workgroup_info 0
		.amdhsa_system_vgpr_workitem_id 0
		.amdhsa_next_free_vgpr 37
		.amdhsa_next_free_sgpr 93
		.amdhsa_reserve_vcc 1
		.amdhsa_reserve_flat_scratch 0
		.amdhsa_float_round_mode_32 0
		.amdhsa_float_round_mode_16_64 0
		.amdhsa_float_denorm_mode_32 3
		.amdhsa_float_denorm_mode_16_64 3
		.amdhsa_dx10_clamp 1
		.amdhsa_ieee_mode 1
		.amdhsa_fp16_overflow 0
		.amdhsa_exception_fp_ieee_invalid_op 0
		.amdhsa_exception_fp_denorm_src 0
		.amdhsa_exception_fp_ieee_div_zero 0
		.amdhsa_exception_fp_ieee_overflow 0
		.amdhsa_exception_fp_ieee_underflow 0
		.amdhsa_exception_fp_ieee_inexact 0
		.amdhsa_exception_int_div_zero 0
	.end_amdhsa_kernel
	.section	.text._ZN9rocsparseL35gtsv_nopivot_pcr_pow2_shared_kernelILj64E21rocsparse_complex_numIfEEEviiiPKT0_S5_S5_PS3_,"axG",@progbits,_ZN9rocsparseL35gtsv_nopivot_pcr_pow2_shared_kernelILj64E21rocsparse_complex_numIfEEEviiiPKT0_S5_S5_PS3_,comdat
.Lfunc_end55:
	.size	_ZN9rocsparseL35gtsv_nopivot_pcr_pow2_shared_kernelILj64E21rocsparse_complex_numIfEEEviiiPKT0_S5_S5_PS3_, .Lfunc_end55-_ZN9rocsparseL35gtsv_nopivot_pcr_pow2_shared_kernelILj64E21rocsparse_complex_numIfEEEviiiPKT0_S5_S5_PS3_
                                        ; -- End function
	.set _ZN9rocsparseL35gtsv_nopivot_pcr_pow2_shared_kernelILj64E21rocsparse_complex_numIfEEEviiiPKT0_S5_S5_PS3_.num_vgpr, 36
	.set _ZN9rocsparseL35gtsv_nopivot_pcr_pow2_shared_kernelILj64E21rocsparse_complex_numIfEEEviiiPKT0_S5_S5_PS3_.num_agpr, 0
	.set _ZN9rocsparseL35gtsv_nopivot_pcr_pow2_shared_kernelILj64E21rocsparse_complex_numIfEEEviiiPKT0_S5_S5_PS3_.numbered_sgpr, 16
	.set _ZN9rocsparseL35gtsv_nopivot_pcr_pow2_shared_kernelILj64E21rocsparse_complex_numIfEEEviiiPKT0_S5_S5_PS3_.num_named_barrier, 0
	.set _ZN9rocsparseL35gtsv_nopivot_pcr_pow2_shared_kernelILj64E21rocsparse_complex_numIfEEEviiiPKT0_S5_S5_PS3_.private_seg_size, 0
	.set _ZN9rocsparseL35gtsv_nopivot_pcr_pow2_shared_kernelILj64E21rocsparse_complex_numIfEEEviiiPKT0_S5_S5_PS3_.uses_vcc, 1
	.set _ZN9rocsparseL35gtsv_nopivot_pcr_pow2_shared_kernelILj64E21rocsparse_complex_numIfEEEviiiPKT0_S5_S5_PS3_.uses_flat_scratch, 0
	.set _ZN9rocsparseL35gtsv_nopivot_pcr_pow2_shared_kernelILj64E21rocsparse_complex_numIfEEEviiiPKT0_S5_S5_PS3_.has_dyn_sized_stack, 0
	.set _ZN9rocsparseL35gtsv_nopivot_pcr_pow2_shared_kernelILj64E21rocsparse_complex_numIfEEEviiiPKT0_S5_S5_PS3_.has_recursion, 0
	.set _ZN9rocsparseL35gtsv_nopivot_pcr_pow2_shared_kernelILj64E21rocsparse_complex_numIfEEEviiiPKT0_S5_S5_PS3_.has_indirect_call, 0
	.section	.AMDGPU.csdata,"",@progbits
; Kernel info:
; codeLenInByte = 3108
; TotalNumSgprs: 20
; NumVgprs: 36
; ScratchSize: 0
; MemoryBound: 0
; FloatMode: 240
; IeeeMode: 1
; LDSByteSize: 2632 bytes/workgroup (compile time only)
; SGPRBlocks: 12
; VGPRBlocks: 9
; NumSGPRsForWavesPerEU: 97
; NumVGPRsForWavesPerEU: 37
; Occupancy: 6
; WaveLimiterHint : 0
; COMPUTE_PGM_RSRC2:SCRATCH_EN: 0
; COMPUTE_PGM_RSRC2:USER_SGPR: 6
; COMPUTE_PGM_RSRC2:TRAP_HANDLER: 0
; COMPUTE_PGM_RSRC2:TGID_X_EN: 1
; COMPUTE_PGM_RSRC2:TGID_Y_EN: 0
; COMPUTE_PGM_RSRC2:TGID_Z_EN: 0
; COMPUTE_PGM_RSRC2:TIDIG_COMP_CNT: 0
	.section	.text._ZN9rocsparseL37gtsv_nopivot_crpcr_pow2_shared_kernelILj64ELj64E21rocsparse_complex_numIfEEEviiiPKT1_S5_S5_PS3_,"axG",@progbits,_ZN9rocsparseL37gtsv_nopivot_crpcr_pow2_shared_kernelILj64ELj64E21rocsparse_complex_numIfEEEviiiPKT1_S5_S5_PS3_,comdat
	.globl	_ZN9rocsparseL37gtsv_nopivot_crpcr_pow2_shared_kernelILj64ELj64E21rocsparse_complex_numIfEEEviiiPKT1_S5_S5_PS3_ ; -- Begin function _ZN9rocsparseL37gtsv_nopivot_crpcr_pow2_shared_kernelILj64ELj64E21rocsparse_complex_numIfEEEviiiPKT1_S5_S5_PS3_
	.p2align	8
	.type	_ZN9rocsparseL37gtsv_nopivot_crpcr_pow2_shared_kernelILj64ELj64E21rocsparse_complex_numIfEEEviiiPKT1_S5_S5_PS3_,@function
_ZN9rocsparseL37gtsv_nopivot_crpcr_pow2_shared_kernelILj64ELj64E21rocsparse_complex_numIfEEEviiiPKT1_S5_S5_PS3_: ; @_ZN9rocsparseL37gtsv_nopivot_crpcr_pow2_shared_kernelILj64ELj64E21rocsparse_complex_numIfEEEviiiPKT1_S5_S5_PS3_
; %bb.0:
	s_load_dwordx8 s[8:15], s[4:5], 0x10
	s_load_dword s0, s[4:5], 0x8
	v_mov_b32_e32 v4, 0
	v_lshlrev_b32_e32 v5, 3, v0
	s_waitcnt lgkmcnt(0)
	global_load_dwordx2 v[6:7], v5, s[8:9]
	global_load_dwordx2 v[8:9], v5, s[8:9] offset:512
	global_load_dwordx2 v[10:11], v5, s[10:11]
	global_load_dwordx2 v[12:13], v5, s[12:13]
	global_load_dwordx2 v[14:15], v5, s[10:11] offset:512
	global_load_dwordx2 v[16:17], v5, s[12:13] offset:512
	s_mul_i32 s0, s0, s6
	v_add_u32_e32 v3, s0, v0
	v_lshlrev_b64 v[1:2], 3, v[3:4]
	v_add_u32_e32 v3, 64, v3
	v_mov_b32_e32 v18, s15
	v_add_co_u32_e32 v1, vcc, s14, v1
	v_lshlrev_b64 v[3:4], 3, v[3:4]
	v_addc_co_u32_e32 v2, vcc, v18, v2, vcc
	v_add_co_u32_e32 v3, vcc, s14, v3
	v_addc_co_u32_e32 v4, vcc, v18, v4, vcc
	global_load_dwordx2 v[18:19], v[1:2], off
	global_load_dwordx2 v[20:21], v[3:4], off
	v_cmp_gt_u32_e64 s[0:1], 64, v0
	s_waitcnt vmcnt(6)
	ds_write2st64_b64 v5, v[6:7], v[8:9] offset1:1
	s_waitcnt vmcnt(3)
	ds_write2st64_b64 v5, v[10:11], v[14:15] offset0:2 offset1:3
	s_waitcnt vmcnt(2)
	ds_write2st64_b64 v5, v[12:13], v[16:17] offset0:4 offset1:5
	;; [unrolled: 2-line block ×3, first 2 shown]
	v_lshlrev_b32_e32 v6, 1, v0
	s_waitcnt lgkmcnt(0)
	; wave barrier
	s_and_saveexec_b64 s[4:5], s[0:1]
	s_cbranch_execz .LBB56_2
; %bb.1:
	v_or_b32_e32 v7, 0x400, v5
	v_add_u32_e32 v27, v7, v5
	ds_read2_b64 v[7:10], v27 offset1:1
	v_min_u32_e32 v11, 0x7d, v6
	v_lshlrev_b32_e32 v28, 3, v11
	ds_read2_b64 v[11:14], v28 offset0:2 offset1:130
	v_add_u32_e32 v33, v5, v5
	s_waitcnt lgkmcnt(1)
	v_mul_f32_e32 v29, v8, v8
	v_fmac_f32_e32 v29, v7, v7
	v_div_scale_f32 v15, s[2:3], v29, v29, 1.0
	s_waitcnt lgkmcnt(0)
	v_mul_f32_e32 v30, v14, v14
	v_fmac_f32_e32 v30, v13, v13
	v_div_scale_f32 v16, s[2:3], v30, v30, 1.0
	v_div_scale_f32 v17, vcc, 1.0, v29, 1.0
	v_div_scale_f32 v18, s[2:3], 1.0, v30, 1.0
	v_or_b32_e32 v21, 0x800, v5
	v_add_u32_e32 v34, v21, v5
	v_rcp_f32_e32 v19, v15
	v_rcp_f32_e32 v20, v16
	v_fma_f32 v22, -v15, v19, 1.0
	v_fmac_f32_e32 v19, v22, v19
	v_mul_f32_e32 v22, v17, v19
	v_fma_f32 v23, -v16, v20, 1.0
	v_fmac_f32_e32 v20, v23, v20
	v_fma_f32 v24, -v15, v22, v17
	v_mul_f32_e32 v23, v18, v20
	v_fmac_f32_e32 v22, v24, v19
	v_fma_f32 v25, -v16, v23, v18
	v_fma_f32 v15, -v15, v22, v17
	v_fmac_f32_e32 v23, v25, v20
	v_div_fmas_f32 v31, v15, v19, v22
	v_fma_f32 v15, -v16, v23, v18
	s_mov_b64 vcc, s[2:3]
	v_div_fmas_f32 v32, v15, v20, v23
	ds_read2_b64 v[15:18], v33 offset1:1
	ds_read_b128 v[19:22], v34
	v_or_b32_e32 v23, 0x1000, v5
	v_add_u32_e32 v35, v23, v5
	ds_read_b128 v[23:26], v35
	s_waitcnt lgkmcnt(2)
	v_mul_f32_e32 v36, v8, v18
	v_mul_f32_e64 v8, v8, -v17
	v_fmac_f32_e32 v36, v17, v7
	v_fmac_f32_e32 v8, v18, v7
	s_waitcnt lgkmcnt(1)
	v_mul_f32_e32 v37, v14, v22
	v_fmac_f32_e32 v37, v21, v13
	v_div_fixup_f32 v7, v31, v29, 1.0
	v_mul_f32_e32 v18, v8, v7
	v_mul_f32_e64 v8, v14, -v21
	v_mul_f32_e32 v17, v7, v36
	v_div_fixup_f32 v7, v32, v30, 1.0
	v_fmac_f32_e32 v8, v22, v13
	v_mul_f32_e32 v29, v7, v37
	v_mul_f32_e32 v13, v8, v7
	v_mul_f32_e64 v7, v18, -v20
	v_mul_f32_e32 v8, v18, v19
	v_fmac_f32_e32 v7, v19, v17
	v_fmac_f32_e32 v8, v20, v17
	v_sub_f32_e32 v7, v9, v7
	v_sub_f32_e32 v8, v10, v8
	v_mul_f32_e64 v9, v13, -v12
	v_mul_f32_e32 v10, v13, v11
	v_fmac_f32_e32 v9, v11, v29
	v_fmac_f32_e32 v10, v12, v29
	v_sub_f32_e32 v7, v7, v9
	v_sub_f32_e32 v8, v8, v10
	ds_write_b64 v27, v[7:8] offset:8
	v_add_u32_e32 v7, 16, v28
	ds_read2st64_b64 v[7:10], v7 offset0:4 offset1:8
	s_waitcnt lgkmcnt(2)
	v_mul_f32_e64 v11, v18, -v24
	v_mul_f32_e32 v12, v18, v23
	v_fmac_f32_e32 v11, v23, v17
	v_fmac_f32_e32 v12, v24, v17
	s_waitcnt lgkmcnt(0)
	v_mul_f32_e64 v14, v13, -v10
	v_mul_f32_e32 v19, v13, v9
	v_sub_f32_e32 v11, v25, v11
	v_sub_f32_e32 v12, v26, v12
	v_fmac_f32_e32 v14, v9, v29
	v_fmac_f32_e32 v19, v10, v29
	v_sub_f32_e32 v9, v11, v14
	v_sub_f32_e32 v10, v12, v19
	ds_write_b64 v35, v[9:10] offset:8
	v_mul_f32_e32 v9, v18, v16
	v_mul_f32_e64 v10, v18, -v15
	v_fma_f32 v9, -v15, v17, v9
	v_fma_f32 v10, -v16, v17, v10
	ds_write_b64 v33, v[9:10] offset:8
	v_mul_f32_e32 v9, v13, v8
	v_fma_f32 v9, -v7, v29, v9
	v_mul_f32_e64 v7, v13, -v7
	v_fma_f32 v10, -v8, v29, v7
	ds_write_b64 v34, v[9:10] offset:8
.LBB56_2:
	s_or_b64 exec, exec, s[4:5]
	v_lshlrev_b32_e32 v6, 3, v6
	s_waitcnt lgkmcnt(0)
	; wave barrier
	ds_read2_b64 v[7:10], v6 offset0:1 offset1:129
	v_add_u32_e32 v11, 8, v6
	ds_read2st64_b64 v[11:14], v11 offset0:4 offset1:8
	s_waitcnt lgkmcnt(1)
	ds_write2st64_b64 v5, v[7:8], v[9:10] offset0:10 offset1:11
	s_waitcnt lgkmcnt(1)
	ds_write2st64_b64 v5, v[11:12], v[13:14] offset0:12 offset1:14
	v_sub_u32_e64 v7, v0, 1 clamp
	v_lshlrev_b32_e32 v23, 3, v7
	v_min_u32_e32 v11, 62, v0
	s_waitcnt lgkmcnt(0)
	; wave barrier
	ds_read2st64_b64 v[7:10], v23 offset0:10 offset1:11
	v_lshlrev_b32_e32 v11, 3, v11
	v_add_u32_e32 v27, 8, v11
	ds_read2st64_b64 v[11:14], v27 offset0:10 offset1:11
	s_waitcnt lgkmcnt(1)
	v_mul_f32_e32 v24, v10, v10
	v_fmac_f32_e32 v24, v9, v9
	v_div_scale_f32 v15, s[2:3], v24, v24, 1.0
	s_waitcnt lgkmcnt(0)
	v_mul_f32_e32 v25, v14, v14
	v_fmac_f32_e32 v25, v13, v13
	v_div_scale_f32 v16, s[2:3], v25, v25, 1.0
	v_div_scale_f32 v17, vcc, 1.0, v24, 1.0
	v_div_scale_f32 v18, s[2:3], 1.0, v25, 1.0
	v_rcp_f32_e32 v19, v15
	v_rcp_f32_e32 v20, v16
	v_fma_f32 v21, -v15, v19, 1.0
	v_fmac_f32_e32 v19, v21, v19
	v_mul_f32_e32 v21, v17, v19
	v_fma_f32 v22, -v16, v20, 1.0
	v_fmac_f32_e32 v20, v22, v20
	v_fma_f32 v22, -v15, v21, v17
	v_fmac_f32_e32 v21, v22, v19
	v_fma_f32 v15, -v15, v21, v17
	v_div_fmas_f32 v26, v15, v19, v21
	v_mul_f32_e32 v15, v18, v20
	v_fma_f32 v17, -v16, v15, v18
	v_fmac_f32_e32 v15, v17, v20
	v_fma_f32 v16, -v16, v15, v18
	s_mov_b64 vcc, s[2:3]
	v_div_fmas_f32 v28, v16, v20, v15
	ds_read2st64_b64 v[15:18], v5 offset0:10 offset1:11
	ds_read2st64_b64 v[19:22], v5 offset0:12 offset1:14
	s_waitcnt lgkmcnt(1)
	v_mul_f32_e32 v29, v10, v16
	v_mul_f32_e64 v10, v10, -v15
	v_fmac_f32_e32 v29, v15, v9
	v_fmac_f32_e32 v10, v16, v9
	s_waitcnt lgkmcnt(0)
	v_mul_f32_e32 v30, v14, v20
	v_div_fixup_f32 v9, v26, v24, 1.0
	v_mul_f32_e32 v16, v9, v29
	v_mul_f32_e32 v29, v10, v9
	v_mul_f32_e64 v10, v14, -v19
	v_fmac_f32_e32 v10, v20, v13
	v_fmac_f32_e32 v30, v19, v13
	v_div_fixup_f32 v9, v28, v25, 1.0
	ds_read2st64_b64 v[23:26], v23 offset0:12 offset1:14
	v_mul_f32_e32 v19, v10, v9
	v_mul_f32_e32 v28, v9, v30
	v_mul_f32_e64 v13, v19, -v12
	v_fmac_f32_e32 v13, v11, v28
	s_waitcnt lgkmcnt(0)
	v_mul_f32_e64 v9, v29, -v24
	v_mul_f32_e32 v10, v29, v23
	v_fmac_f32_e32 v9, v23, v16
	v_fmac_f32_e32 v10, v24, v16
	v_mul_f32_e32 v11, v19, v11
	v_sub_f32_e32 v9, v17, v9
	v_sub_f32_e32 v10, v18, v10
	v_fmac_f32_e32 v11, v12, v28
	v_sub_f32_e32 v13, v9, v13
	v_sub_f32_e32 v14, v10, v11
	ds_read2st64_b64 v[9:12], v27 offset0:12 offset1:14
	v_mul_f32_e64 v15, v29, -v26
	v_fmac_f32_e32 v15, v25, v16
	v_sub_f32_e32 v15, v21, v15
	v_mul_f32_e32 v17, v29, v25
	s_waitcnt lgkmcnt(0)
	v_mul_f32_e64 v18, v19, -v12
	v_fmac_f32_e32 v18, v11, v28
	v_mul_f32_e32 v20, v19, v11
	v_sub_f32_e32 v11, v15, v18
	v_mul_f32_e32 v15, v29, v8
	v_fma_f32 v15, -v7, v16, v15
	v_mul_f32_e64 v7, v29, -v7
	v_fmac_f32_e32 v17, v26, v16
	v_fma_f32 v16, -v8, v16, v7
	v_mul_f32_e32 v7, v19, v10
	v_sub_f32_e32 v17, v22, v17
	v_fmac_f32_e32 v20, v12, v28
	v_fma_f32 v7, -v9, v28, v7
	v_mul_f32_e64 v8, v19, -v9
	v_sub_f32_e32 v12, v17, v20
	v_fma_f32 v8, -v10, v28, v8
	; wave barrier
	ds_write2st64_b64 v5, v[15:16], v[13:14] offset0:10 offset1:11
	ds_write2st64_b64 v5, v[7:8], v[11:12] offset0:12 offset1:14
	v_sub_u32_e64 v7, v0, 2 clamp
	v_lshlrev_b32_e32 v23, 3, v7
	s_waitcnt lgkmcnt(0)
	; wave barrier
	ds_read2st64_b64 v[7:10], v23 offset0:10 offset1:11
	v_min_u32_e32 v11, 61, v0
	v_lshlrev_b32_e32 v11, 3, v11
	v_add_u32_e32 v27, 16, v11
	ds_read2st64_b64 v[11:14], v27 offset0:10 offset1:11
	s_waitcnt lgkmcnt(1)
	v_mul_f32_e32 v19, v10, v10
	v_fmac_f32_e32 v19, v9, v9
	v_div_scale_f32 v15, s[2:3], v19, v19, 1.0
	v_div_scale_f32 v16, vcc, 1.0, v19, 1.0
	s_waitcnt lgkmcnt(0)
	v_mul_f32_e32 v24, v14, v14
	v_fmac_f32_e32 v24, v13, v13
	v_div_scale_f32 v17, s[2:3], v24, v24, 1.0
	v_div_scale_f32 v18, s[2:3], 1.0, v24, 1.0
	v_rcp_f32_e32 v20, v15
	v_fma_f32 v21, -v15, v20, 1.0
	v_fmac_f32_e32 v20, v21, v20
	v_mul_f32_e32 v21, v16, v20
	v_fma_f32 v22, -v15, v21, v16
	v_fmac_f32_e32 v21, v22, v20
	v_rcp_f32_e32 v22, v17
	v_fma_f32 v15, -v15, v21, v16
	v_div_fmas_f32 v20, v15, v20, v21
	s_mov_b64 vcc, s[2:3]
	v_fma_f32 v15, -v17, v22, 1.0
	v_fmac_f32_e32 v22, v15, v22
	v_mul_f32_e32 v15, v18, v22
	v_fma_f32 v16, -v17, v15, v18
	v_fmac_f32_e32 v15, v16, v22
	v_fma_f32 v16, -v17, v15, v18
	v_div_fmas_f32 v25, v16, v22, v15
	ds_read2st64_b64 v[15:18], v5 offset0:10 offset1:11
	v_div_fixup_f32 v26, v20, v19, 1.0
	s_waitcnt lgkmcnt(0)
	v_mul_f32_e32 v19, v10, v16
	v_fmac_f32_e32 v19, v15, v9
	v_mul_f32_e32 v28, v26, v19
	ds_read2st64_b64 v[19:22], v5 offset0:12 offset1:14
	v_mul_f32_e64 v10, v10, -v15
	v_fmac_f32_e32 v10, v16, v9
	v_mul_f32_e32 v16, v10, v26
	v_div_fixup_f32 v9, v25, v24, 1.0
	s_waitcnt lgkmcnt(0)
	v_mul_f32_e32 v10, v14, v20
	ds_read2st64_b64 v[23:26], v23 offset0:12 offset1:14
	v_fmac_f32_e32 v10, v19, v13
	v_mul_f32_e32 v29, v9, v10
	v_mul_f32_e64 v10, v14, -v19
	v_fmac_f32_e32 v10, v20, v13
	v_mul_f32_e32 v19, v10, v9
	s_waitcnt lgkmcnt(0)
	v_mul_f32_e64 v9, v16, -v24
	v_mul_f32_e32 v10, v16, v23
	v_mul_f32_e64 v13, v19, -v12
	v_fmac_f32_e32 v9, v23, v28
	v_fmac_f32_e32 v10, v24, v28
	;; [unrolled: 1-line block ×3, first 2 shown]
	v_mul_f32_e32 v11, v19, v11
	v_sub_f32_e32 v9, v17, v9
	v_sub_f32_e32 v10, v18, v10
	v_fmac_f32_e32 v11, v12, v29
	v_sub_f32_e32 v13, v9, v13
	v_sub_f32_e32 v14, v10, v11
	ds_read2st64_b64 v[9:12], v27 offset0:12 offset1:14
	v_mul_f32_e64 v15, v16, -v26
	v_fmac_f32_e32 v15, v25, v28
	v_sub_f32_e32 v15, v21, v15
	v_mul_f32_e32 v17, v16, v25
	s_waitcnt lgkmcnt(0)
	v_mul_f32_e64 v18, v19, -v12
	v_fmac_f32_e32 v18, v11, v29
	v_mul_f32_e32 v20, v19, v11
	v_sub_f32_e32 v11, v15, v18
	v_mul_f32_e32 v15, v16, v8
	v_fma_f32 v15, -v7, v28, v15
	v_mul_f32_e64 v7, v16, -v7
	v_fmac_f32_e32 v17, v26, v28
	v_fma_f32 v16, -v8, v28, v7
	v_mul_f32_e32 v7, v19, v10
	v_sub_f32_e32 v17, v22, v17
	v_fmac_f32_e32 v20, v12, v29
	v_fma_f32 v7, -v9, v29, v7
	v_mul_f32_e64 v8, v19, -v9
	v_sub_f32_e32 v12, v17, v20
	v_fma_f32 v8, -v10, v29, v8
	; wave barrier
	ds_write2st64_b64 v5, v[15:16], v[13:14] offset0:10 offset1:11
	ds_write2st64_b64 v5, v[7:8], v[11:12] offset0:12 offset1:14
	v_sub_u32_e64 v7, v0, 4 clamp
	v_lshlrev_b32_e32 v23, 3, v7
	s_waitcnt lgkmcnt(0)
	; wave barrier
	ds_read2st64_b64 v[7:10], v23 offset0:10 offset1:11
	v_min_u32_e32 v11, 59, v0
	v_lshlrev_b32_e32 v11, 3, v11
	v_add_u32_e32 v27, 32, v11
	ds_read2st64_b64 v[11:14], v27 offset0:10 offset1:11
	s_waitcnt lgkmcnt(1)
	v_mul_f32_e32 v19, v10, v10
	v_fmac_f32_e32 v19, v9, v9
	v_div_scale_f32 v15, s[2:3], v19, v19, 1.0
	v_div_scale_f32 v16, vcc, 1.0, v19, 1.0
	s_waitcnt lgkmcnt(0)
	v_mul_f32_e32 v24, v14, v14
	v_fmac_f32_e32 v24, v13, v13
	v_div_scale_f32 v17, s[2:3], v24, v24, 1.0
	v_div_scale_f32 v18, s[2:3], 1.0, v24, 1.0
	v_rcp_f32_e32 v20, v15
	v_fma_f32 v21, -v15, v20, 1.0
	v_fmac_f32_e32 v20, v21, v20
	v_mul_f32_e32 v21, v16, v20
	v_fma_f32 v22, -v15, v21, v16
	v_fmac_f32_e32 v21, v22, v20
	v_rcp_f32_e32 v22, v17
	v_fma_f32 v15, -v15, v21, v16
	v_div_fmas_f32 v20, v15, v20, v21
	s_mov_b64 vcc, s[2:3]
	v_fma_f32 v15, -v17, v22, 1.0
	v_fmac_f32_e32 v22, v15, v22
	v_mul_f32_e32 v15, v18, v22
	v_fma_f32 v16, -v17, v15, v18
	v_fmac_f32_e32 v15, v16, v22
	v_fma_f32 v16, -v17, v15, v18
	v_div_fmas_f32 v25, v16, v22, v15
	ds_read2st64_b64 v[15:18], v5 offset0:10 offset1:11
	v_div_fixup_f32 v26, v20, v19, 1.0
	s_waitcnt lgkmcnt(0)
	v_mul_f32_e32 v19, v10, v16
	v_fmac_f32_e32 v19, v15, v9
	v_mul_f32_e32 v28, v26, v19
	ds_read2st64_b64 v[19:22], v5 offset0:12 offset1:14
	v_mul_f32_e64 v10, v10, -v15
	v_fmac_f32_e32 v10, v16, v9
	v_mul_f32_e32 v16, v10, v26
	v_div_fixup_f32 v9, v25, v24, 1.0
	s_waitcnt lgkmcnt(0)
	v_mul_f32_e32 v10, v14, v20
	ds_read2st64_b64 v[23:26], v23 offset0:12 offset1:14
	v_fmac_f32_e32 v10, v19, v13
	v_mul_f32_e32 v29, v9, v10
	v_mul_f32_e64 v10, v14, -v19
	v_fmac_f32_e32 v10, v20, v13
	v_mul_f32_e32 v19, v10, v9
	s_waitcnt lgkmcnt(0)
	v_mul_f32_e64 v9, v16, -v24
	v_mul_f32_e32 v10, v16, v23
	v_mul_f32_e64 v13, v19, -v12
	v_fmac_f32_e32 v9, v23, v28
	v_fmac_f32_e32 v10, v24, v28
	;; [unrolled: 1-line block ×3, first 2 shown]
	v_mul_f32_e32 v11, v19, v11
	v_sub_f32_e32 v9, v17, v9
	v_sub_f32_e32 v10, v18, v10
	v_fmac_f32_e32 v11, v12, v29
	v_sub_f32_e32 v13, v9, v13
	v_sub_f32_e32 v14, v10, v11
	ds_read2st64_b64 v[9:12], v27 offset0:12 offset1:14
	v_mul_f32_e64 v15, v16, -v26
	v_fmac_f32_e32 v15, v25, v28
	v_sub_f32_e32 v15, v21, v15
	v_mul_f32_e32 v17, v16, v25
	s_waitcnt lgkmcnt(0)
	v_mul_f32_e64 v18, v19, -v12
	v_fmac_f32_e32 v18, v11, v29
	v_mul_f32_e32 v20, v19, v11
	v_sub_f32_e32 v11, v15, v18
	v_mul_f32_e32 v15, v16, v8
	v_fma_f32 v15, -v7, v28, v15
	v_mul_f32_e64 v7, v16, -v7
	v_fmac_f32_e32 v17, v26, v28
	v_fma_f32 v16, -v8, v28, v7
	v_mul_f32_e32 v7, v19, v10
	v_sub_f32_e32 v17, v22, v17
	v_fmac_f32_e32 v20, v12, v29
	v_fma_f32 v7, -v9, v29, v7
	v_mul_f32_e64 v8, v19, -v9
	v_sub_f32_e32 v12, v17, v20
	v_fma_f32 v8, -v10, v29, v8
	; wave barrier
	ds_write2st64_b64 v5, v[15:16], v[13:14] offset0:10 offset1:11
	ds_write2st64_b64 v5, v[7:8], v[11:12] offset0:12 offset1:14
	v_sub_u32_e64 v7, v0, 8 clamp
	v_lshlrev_b32_e32 v23, 3, v7
	s_waitcnt lgkmcnt(0)
	; wave barrier
	ds_read2st64_b64 v[7:10], v23 offset0:10 offset1:11
	v_min_u32_e32 v11, 55, v0
	v_lshlrev_b32_e32 v11, 3, v11
	v_add_u32_e32 v27, 64, v11
	ds_read2st64_b64 v[11:14], v27 offset0:10 offset1:11
	s_waitcnt lgkmcnt(1)
	v_mul_f32_e32 v19, v10, v10
	v_fmac_f32_e32 v19, v9, v9
	v_div_scale_f32 v15, s[2:3], v19, v19, 1.0
	v_div_scale_f32 v16, vcc, 1.0, v19, 1.0
	s_waitcnt lgkmcnt(0)
	v_mul_f32_e32 v24, v14, v14
	v_fmac_f32_e32 v24, v13, v13
	v_div_scale_f32 v17, s[2:3], v24, v24, 1.0
	v_div_scale_f32 v18, s[2:3], 1.0, v24, 1.0
	v_rcp_f32_e32 v20, v15
	v_fma_f32 v21, -v15, v20, 1.0
	v_fmac_f32_e32 v20, v21, v20
	v_mul_f32_e32 v21, v16, v20
	v_fma_f32 v22, -v15, v21, v16
	v_fmac_f32_e32 v21, v22, v20
	v_rcp_f32_e32 v22, v17
	v_fma_f32 v15, -v15, v21, v16
	v_div_fmas_f32 v20, v15, v20, v21
	s_mov_b64 vcc, s[2:3]
	v_fma_f32 v15, -v17, v22, 1.0
	v_fmac_f32_e32 v22, v15, v22
	v_mul_f32_e32 v15, v18, v22
	v_fma_f32 v16, -v17, v15, v18
	v_fmac_f32_e32 v15, v16, v22
	v_fma_f32 v16, -v17, v15, v18
	v_div_fmas_f32 v25, v16, v22, v15
	ds_read2st64_b64 v[15:18], v5 offset0:10 offset1:11
	v_div_fixup_f32 v26, v20, v19, 1.0
	s_waitcnt lgkmcnt(0)
	v_mul_f32_e32 v19, v10, v16
	v_fmac_f32_e32 v19, v15, v9
	v_mul_f32_e32 v28, v26, v19
	ds_read2st64_b64 v[19:22], v5 offset0:12 offset1:14
	v_mul_f32_e64 v10, v10, -v15
	v_fmac_f32_e32 v10, v16, v9
	v_mul_f32_e32 v16, v10, v26
	v_div_fixup_f32 v9, v25, v24, 1.0
	s_waitcnt lgkmcnt(0)
	v_mul_f32_e32 v10, v14, v20
	ds_read2st64_b64 v[23:26], v23 offset0:12 offset1:14
	v_fmac_f32_e32 v10, v19, v13
	v_mul_f32_e32 v29, v9, v10
	v_mul_f32_e64 v10, v14, -v19
	v_fmac_f32_e32 v10, v20, v13
	v_mul_f32_e32 v19, v10, v9
	s_waitcnt lgkmcnt(0)
	v_mul_f32_e64 v9, v16, -v24
	v_mul_f32_e32 v10, v16, v23
	v_mul_f32_e64 v13, v19, -v12
	v_fmac_f32_e32 v9, v23, v28
	v_fmac_f32_e32 v10, v24, v28
	;; [unrolled: 1-line block ×3, first 2 shown]
	v_mul_f32_e32 v11, v19, v11
	v_sub_f32_e32 v9, v17, v9
	v_sub_f32_e32 v10, v18, v10
	v_fmac_f32_e32 v11, v12, v29
	v_sub_f32_e32 v13, v9, v13
	v_sub_f32_e32 v14, v10, v11
	ds_read2st64_b64 v[9:12], v27 offset0:12 offset1:14
	v_mul_f32_e64 v15, v16, -v26
	v_fmac_f32_e32 v15, v25, v28
	v_sub_f32_e32 v15, v21, v15
	v_mul_f32_e32 v17, v16, v25
	s_waitcnt lgkmcnt(0)
	v_mul_f32_e64 v18, v19, -v12
	v_fmac_f32_e32 v18, v11, v29
	v_mul_f32_e32 v20, v19, v11
	v_sub_f32_e32 v11, v15, v18
	v_mul_f32_e32 v15, v16, v8
	v_fma_f32 v15, -v7, v28, v15
	v_mul_f32_e64 v7, v16, -v7
	v_fmac_f32_e32 v17, v26, v28
	v_fma_f32 v16, -v8, v28, v7
	v_mul_f32_e32 v7, v19, v10
	v_sub_f32_e32 v17, v22, v17
	v_fmac_f32_e32 v20, v12, v29
	v_fma_f32 v7, -v9, v29, v7
	v_mul_f32_e64 v8, v19, -v9
	v_sub_f32_e32 v12, v17, v20
	v_fma_f32 v8, -v10, v29, v8
	; wave barrier
	ds_write2st64_b64 v5, v[15:16], v[13:14] offset0:10 offset1:11
	ds_write2st64_b64 v5, v[7:8], v[11:12] offset0:12 offset1:14
	v_sub_u32_e64 v7, v0, 16 clamp
	v_lshlrev_b32_e32 v23, 3, v7
	s_waitcnt lgkmcnt(0)
	; wave barrier
	ds_read2st64_b64 v[7:10], v23 offset0:10 offset1:11
	v_min_u32_e32 v11, 47, v0
	v_lshlrev_b32_e32 v11, 3, v11
	v_add_u32_e32 v27, 0x80, v11
	ds_read2st64_b64 v[11:14], v27 offset0:10 offset1:11
	s_waitcnt lgkmcnt(1)
	v_mul_f32_e32 v19, v10, v10
	v_fmac_f32_e32 v19, v9, v9
	v_div_scale_f32 v15, s[2:3], v19, v19, 1.0
	v_div_scale_f32 v16, vcc, 1.0, v19, 1.0
	s_waitcnt lgkmcnt(0)
	v_mul_f32_e32 v24, v14, v14
	v_fmac_f32_e32 v24, v13, v13
	v_div_scale_f32 v17, s[2:3], v24, v24, 1.0
	v_div_scale_f32 v18, s[2:3], 1.0, v24, 1.0
	v_rcp_f32_e32 v20, v15
	v_fma_f32 v21, -v15, v20, 1.0
	v_fmac_f32_e32 v20, v21, v20
	v_mul_f32_e32 v21, v16, v20
	v_fma_f32 v22, -v15, v21, v16
	v_fmac_f32_e32 v21, v22, v20
	v_rcp_f32_e32 v22, v17
	v_fma_f32 v15, -v15, v21, v16
	v_div_fmas_f32 v20, v15, v20, v21
	s_mov_b64 vcc, s[2:3]
	v_fma_f32 v15, -v17, v22, 1.0
	v_fmac_f32_e32 v22, v15, v22
	v_mul_f32_e32 v15, v18, v22
	v_fma_f32 v16, -v17, v15, v18
	v_fmac_f32_e32 v15, v16, v22
	v_fma_f32 v16, -v17, v15, v18
	v_div_fmas_f32 v25, v16, v22, v15
	ds_read2st64_b64 v[15:18], v5 offset0:10 offset1:11
	v_cmp_gt_u32_e32 vcc, 32, v0
	v_div_fixup_f32 v26, v20, v19, 1.0
	s_waitcnt lgkmcnt(0)
	v_mul_f32_e32 v19, v10, v16
	v_fmac_f32_e32 v19, v15, v9
	v_mul_f32_e32 v28, v26, v19
	ds_read2st64_b64 v[19:22], v5 offset0:12 offset1:14
	v_mul_f32_e64 v10, v10, -v15
	v_fmac_f32_e32 v10, v16, v9
	v_mul_f32_e32 v16, v10, v26
	v_div_fixup_f32 v9, v25, v24, 1.0
	s_waitcnt lgkmcnt(0)
	v_mul_f32_e32 v10, v14, v20
	ds_read2st64_b64 v[23:26], v23 offset0:12 offset1:14
	v_fmac_f32_e32 v10, v19, v13
	v_mul_f32_e32 v29, v9, v10
	v_mul_f32_e64 v10, v14, -v19
	v_fmac_f32_e32 v10, v20, v13
	v_mul_f32_e32 v19, v10, v9
	s_waitcnt lgkmcnt(0)
	v_mul_f32_e64 v9, v16, -v24
	v_mul_f32_e32 v10, v16, v23
	v_mul_f32_e64 v13, v19, -v12
	v_fmac_f32_e32 v9, v23, v28
	v_fmac_f32_e32 v10, v24, v28
	;; [unrolled: 1-line block ×3, first 2 shown]
	v_mul_f32_e32 v11, v19, v11
	v_sub_f32_e32 v9, v17, v9
	v_sub_f32_e32 v10, v18, v10
	v_fmac_f32_e32 v11, v12, v29
	v_sub_f32_e32 v13, v9, v13
	v_sub_f32_e32 v14, v10, v11
	ds_read2st64_b64 v[9:12], v27 offset0:12 offset1:14
	v_mul_f32_e64 v15, v16, -v26
	v_fmac_f32_e32 v15, v25, v28
	v_sub_f32_e32 v15, v21, v15
	v_mul_f32_e32 v17, v16, v25
	s_waitcnt lgkmcnt(0)
	v_mul_f32_e64 v18, v19, -v12
	v_fmac_f32_e32 v18, v11, v29
	v_mul_f32_e32 v20, v19, v11
	v_sub_f32_e32 v11, v15, v18
	v_mul_f32_e32 v15, v16, v8
	v_fmac_f32_e32 v17, v26, v28
	v_fma_f32 v15, -v7, v28, v15
	v_mul_f32_e64 v7, v16, -v7
	v_sub_f32_e32 v17, v22, v17
	v_fmac_f32_e32 v20, v12, v29
	v_fma_f32 v16, -v8, v28, v7
	v_mul_f32_e32 v7, v19, v10
	v_mul_f32_e64 v8, v19, -v9
	v_sub_f32_e32 v12, v17, v20
	v_fma_f32 v7, -v9, v29, v7
	v_fma_f32 v8, -v10, v29, v8
	; wave barrier
	ds_write2st64_b64 v5, v[15:16], v[13:14] offset0:10 offset1:11
	ds_write2st64_b64 v5, v[7:8], v[11:12] offset0:12 offset1:14
	s_waitcnt lgkmcnt(0)
	; wave barrier
	s_and_saveexec_b64 s[2:3], vcc
	s_cbranch_execz .LBB56_4
; %bb.3:
	v_or_b32_e32 v7, 0x1600, v5
	v_or_b32_e32 v12, 0x1800, v5
	ds_read2_b64 v[7:10], v7 offset1:32
	v_or_b32_e32 v11, 0x1400, v5
	ds_read_b64 v[15:16], v12
	ds_read_b64 v[17:18], v11 offset:256
	s_waitcnt lgkmcnt(2)
	v_mul_f32_e32 v12, v8, v9
	v_mul_f32_e64 v11, v8, -v10
	s_waitcnt lgkmcnt(0)
	v_mul_f32_e32 v14, v18, v15
	v_fmac_f32_e32 v12, v10, v7
	v_mul_f32_e64 v13, v18, -v16
	v_fmac_f32_e32 v14, v16, v17
	v_fmac_f32_e32 v11, v9, v7
	;; [unrolled: 1-line block ×3, first 2 shown]
	v_sub_f32_e32 v20, v12, v14
	v_sub_f32_e32 v19, v11, v13
	v_mul_f32_e32 v21, v20, v20
	v_fmac_f32_e32 v21, v19, v19
	v_div_scale_f32 v22, s[4:5], v21, v21, 1.0
	v_div_scale_f32 v23, vcc, 1.0, v21, 1.0
	v_or_b32_e32 v11, 0x1c00, v5
	ds_read2_b64 v[11:14], v11 offset1:32
	s_waitcnt lgkmcnt(0)
	v_mul_f32_e32 v26, v12, v9
	v_mul_f32_e64 v25, v12, -v10
	v_fmac_f32_e32 v26, v10, v11
	v_fmac_f32_e32 v25, v9, v11
	v_mul_f32_e64 v29, v18, -v12
	v_fmac_f32_e32 v29, v11, v17
	v_rcp_f32_e32 v24, v22
	v_fma_f32 v27, -v22, v24, 1.0
	v_fmac_f32_e32 v24, v27, v24
	v_mul_f32_e32 v27, v23, v24
	v_fma_f32 v28, -v22, v27, v23
	v_fmac_f32_e32 v27, v28, v24
	v_fma_f32 v22, -v22, v27, v23
	v_div_fmas_f32 v22, v22, v24, v27
	v_mul_f32_e64 v23, v14, -v16
	v_mul_f32_e32 v24, v14, v15
	v_mul_f32_e64 v27, v8, -v14
	v_mul_f32_e32 v28, v8, v13
	v_fmac_f32_e32 v23, v15, v13
	v_fmac_f32_e32 v24, v16, v13
	;; [unrolled: 1-line block ×4, first 2 shown]
	v_fma_f32 v7, 0, v20, v19
	v_fma_f32 v8, v19, 0, -v20
	v_sub_f32_e32 v10, v26, v24
	v_sub_f32_e32 v9, v25, v23
	v_div_fixup_f32 v13, v22, v21, 1.0
	v_mul_f32_e32 v14, v7, v13
	v_mul_f32_e32 v13, v8, v13
	v_mul_f32_e64 v7, v13, -v10
	v_mul_f32_e32 v8, v13, v9
	v_fmac_f32_e32 v7, v9, v14
	v_mul_f32_e32 v9, v18, v11
	v_fmac_f32_e32 v9, v12, v17
	v_sub_f32_e32 v11, v28, v9
	v_fmac_f32_e32 v8, v10, v14
	v_sub_f32_e32 v10, v27, v29
	v_mul_f32_e64 v9, v13, -v11
	v_fmac_f32_e32 v9, v10, v14
	v_mul_f32_e32 v10, v13, v10
	v_fmac_f32_e32 v10, v11, v14
	v_add_u32_e32 v11, 0x1800, v5
	ds_write2_b64 v11, v[7:8], v[9:10] offset0:64 offset1:96
.LBB56_4:
	s_or_b64 exec, exec, s[2:3]
	s_waitcnt lgkmcnt(0)
	; wave barrier
	ds_read_b64 v[8:9], v5 offset:6656
	v_lshlrev_b32_e32 v10, 4, v0
	v_or_b32_e32 v7, 0xc00, v10
	s_waitcnt lgkmcnt(0)
	ds_write_b64 v10, v[8:9] offset:3080
	s_waitcnt lgkmcnt(0)
	; wave barrier
	s_and_saveexec_b64 s[2:3], s[0:1]
	s_cbranch_execz .LBB56_10
; %bb.5:
	v_or_b32_e32 v10, 0x400, v6
	v_or_b32_e32 v8, 0x800, v6
	;; [unrolled: 1-line block ×3, first 2 shown]
	v_cmp_ne_u32_e32 vcc, 0, v0
                                        ; implicit-def: $vgpr0
	s_and_saveexec_b64 s[0:1], vcc
	s_xor_b64 s[0:1], exec, s[0:1]
	s_cbranch_execz .LBB56_7
; %bb.6:
	ds_read_b64 v[10:11], v10
	v_add_u32_e32 v14, -8, v7
	ds_read_b64 v[12:13], v6
	ds_read_b64 v[14:15], v14
	;; [unrolled: 1-line block ×4, first 2 shown]
	ds_read_b64 v[18:19], v7 offset:8
	s_waitcnt lgkmcnt(5)
	v_mul_f32_e32 v0, v11, v11
	v_fmac_f32_e32 v0, v10, v10
	v_div_scale_f32 v20, s[4:5], v0, v0, 1.0
	v_div_scale_f32 v21, vcc, 1.0, v0, 1.0
	s_waitcnt lgkmcnt(3)
	v_mul_f32_e64 v22, v15, -v13
	v_mul_f32_e32 v15, v15, v12
	v_fmac_f32_e32 v15, v13, v14
	v_fmac_f32_e32 v22, v12, v14
	v_rcp_f32_e32 v6, v20
	v_fma_f32 v23, -v20, v6, 1.0
	v_fmac_f32_e32 v6, v23, v6
	v_mul_f32_e32 v23, v21, v6
	v_fma_f32 v24, -v20, v23, v21
	v_fmac_f32_e32 v23, v24, v6
	v_fma_f32 v20, -v20, v23, v21
	v_div_fmas_f32 v6, v20, v6, v23
	s_waitcnt lgkmcnt(0)
	v_mul_f32_e64 v20, v19, -v9
	v_mul_f32_e32 v19, v19, v8
	v_fmac_f32_e32 v19, v9, v18
	v_sub_f32_e32 v9, v17, v15
	v_fmac_f32_e32 v20, v8, v18
	v_sub_f32_e32 v8, v16, v22
	v_sub_f32_e32 v9, v9, v19
	;; [unrolled: 1-line block ×3, first 2 shown]
	v_mul_f32_e32 v12, v11, v9
	v_mul_f32_e64 v11, v11, -v8
	v_fmac_f32_e32 v12, v8, v10
	v_fmac_f32_e32 v11, v9, v10
                                        ; implicit-def: $vgpr8
                                        ; implicit-def: $vgpr9
                                        ; implicit-def: $vgpr10
	v_div_fixup_f32 v0, v6, v0, 1.0
	v_mul_f32_e32 v6, v0, v12
	v_mul_f32_e32 v0, v0, v11
	ds_write_b32 v7, v6
.LBB56_7:
	s_andn2_saveexec_b64 s[0:1], s[0:1]
	s_cbranch_execz .LBB56_9
; %bb.8:
	ds_read_b64 v[10:11], v10
	s_waitcnt lgkmcnt(0)
	v_mul_f32_e32 v0, v11, v11
	v_fmac_f32_e32 v0, v10, v10
	v_div_scale_f32 v6, s[4:5], v0, v0, 1.0
	v_div_scale_f32 v12, vcc, 1.0, v0, 1.0
	v_rcp_f32_e32 v13, v6
	v_fma_f32 v14, -v6, v13, 1.0
	v_fmac_f32_e32 v13, v14, v13
	v_mul_f32_e32 v14, v12, v13
	v_fma_f32 v15, -v6, v14, v12
	v_fmac_f32_e32 v14, v15, v13
	v_fma_f32 v6, -v6, v14, v12
	v_div_fmas_f32 v6, v6, v13, v14
	ds_read_b64 v[12:13], v8
	ds_read_b64 v[8:9], v9
	ds_read_b64 v[14:15], v7 offset:8
	s_waitcnt lgkmcnt(0)
	v_mul_f32_e64 v16, v15, -v13
	v_mul_f32_e32 v15, v15, v12
	v_fmac_f32_e32 v16, v12, v14
	v_fmac_f32_e32 v15, v13, v14
	v_sub_f32_e32 v8, v8, v16
	v_sub_f32_e32 v9, v9, v15
	v_mul_f32_e32 v12, v11, v9
	v_mul_f32_e64 v11, v11, -v8
	v_fmac_f32_e32 v12, v8, v10
	v_fmac_f32_e32 v11, v9, v10
	v_div_fixup_f32 v0, v6, v0, 1.0
	v_mul_f32_e32 v6, v0, v12
	v_mul_f32_e32 v0, v11, v0
	ds_write_b32 v7, v6
.LBB56_9:
	s_or_b64 exec, exec, s[0:1]
	ds_write_b32 v7, v0 offset:4
.LBB56_10:
	s_or_b64 exec, exec, s[2:3]
	v_sub_u32_e32 v0, v7, v5
	s_waitcnt lgkmcnt(0)
	; wave barrier
	ds_read2st64_b64 v[5:8], v0 offset1:1
	s_waitcnt lgkmcnt(0)
	global_store_dwordx2 v[1:2], v[5:6], off
	global_store_dwordx2 v[3:4], v[7:8], off
	s_endpgm
	.section	.rodata,"a",@progbits
	.p2align	6, 0x0
	.amdhsa_kernel _ZN9rocsparseL37gtsv_nopivot_crpcr_pow2_shared_kernelILj64ELj64E21rocsparse_complex_numIfEEEviiiPKT1_S5_S5_PS3_
		.amdhsa_group_segment_fixed_size 7680
		.amdhsa_private_segment_fixed_size 0
		.amdhsa_kernarg_size 48
		.amdhsa_user_sgpr_count 6
		.amdhsa_user_sgpr_private_segment_buffer 1
		.amdhsa_user_sgpr_dispatch_ptr 0
		.amdhsa_user_sgpr_queue_ptr 0
		.amdhsa_user_sgpr_kernarg_segment_ptr 1
		.amdhsa_user_sgpr_dispatch_id 0
		.amdhsa_user_sgpr_flat_scratch_init 0
		.amdhsa_user_sgpr_private_segment_size 0
		.amdhsa_uses_dynamic_stack 0
		.amdhsa_system_sgpr_private_segment_wavefront_offset 0
		.amdhsa_system_sgpr_workgroup_id_x 1
		.amdhsa_system_sgpr_workgroup_id_y 0
		.amdhsa_system_sgpr_workgroup_id_z 0
		.amdhsa_system_sgpr_workgroup_info 0
		.amdhsa_system_vgpr_workitem_id 0
		.amdhsa_next_free_vgpr 85
		.amdhsa_next_free_sgpr 98
		.amdhsa_reserve_vcc 1
		.amdhsa_reserve_flat_scratch 0
		.amdhsa_float_round_mode_32 0
		.amdhsa_float_round_mode_16_64 0
		.amdhsa_float_denorm_mode_32 3
		.amdhsa_float_denorm_mode_16_64 3
		.amdhsa_dx10_clamp 1
		.amdhsa_ieee_mode 1
		.amdhsa_fp16_overflow 0
		.amdhsa_exception_fp_ieee_invalid_op 0
		.amdhsa_exception_fp_denorm_src 0
		.amdhsa_exception_fp_ieee_div_zero 0
		.amdhsa_exception_fp_ieee_overflow 0
		.amdhsa_exception_fp_ieee_underflow 0
		.amdhsa_exception_fp_ieee_inexact 0
		.amdhsa_exception_int_div_zero 0
	.end_amdhsa_kernel
	.section	.text._ZN9rocsparseL37gtsv_nopivot_crpcr_pow2_shared_kernelILj64ELj64E21rocsparse_complex_numIfEEEviiiPKT1_S5_S5_PS3_,"axG",@progbits,_ZN9rocsparseL37gtsv_nopivot_crpcr_pow2_shared_kernelILj64ELj64E21rocsparse_complex_numIfEEEviiiPKT1_S5_S5_PS3_,comdat
.Lfunc_end56:
	.size	_ZN9rocsparseL37gtsv_nopivot_crpcr_pow2_shared_kernelILj64ELj64E21rocsparse_complex_numIfEEEviiiPKT1_S5_S5_PS3_, .Lfunc_end56-_ZN9rocsparseL37gtsv_nopivot_crpcr_pow2_shared_kernelILj64ELj64E21rocsparse_complex_numIfEEEviiiPKT1_S5_S5_PS3_
                                        ; -- End function
	.set _ZN9rocsparseL37gtsv_nopivot_crpcr_pow2_shared_kernelILj64ELj64E21rocsparse_complex_numIfEEEviiiPKT1_S5_S5_PS3_.num_vgpr, 38
	.set _ZN9rocsparseL37gtsv_nopivot_crpcr_pow2_shared_kernelILj64ELj64E21rocsparse_complex_numIfEEEviiiPKT1_S5_S5_PS3_.num_agpr, 0
	.set _ZN9rocsparseL37gtsv_nopivot_crpcr_pow2_shared_kernelILj64ELj64E21rocsparse_complex_numIfEEEviiiPKT1_S5_S5_PS3_.numbered_sgpr, 16
	.set _ZN9rocsparseL37gtsv_nopivot_crpcr_pow2_shared_kernelILj64ELj64E21rocsparse_complex_numIfEEEviiiPKT1_S5_S5_PS3_.num_named_barrier, 0
	.set _ZN9rocsparseL37gtsv_nopivot_crpcr_pow2_shared_kernelILj64ELj64E21rocsparse_complex_numIfEEEviiiPKT1_S5_S5_PS3_.private_seg_size, 0
	.set _ZN9rocsparseL37gtsv_nopivot_crpcr_pow2_shared_kernelILj64ELj64E21rocsparse_complex_numIfEEEviiiPKT1_S5_S5_PS3_.uses_vcc, 1
	.set _ZN9rocsparseL37gtsv_nopivot_crpcr_pow2_shared_kernelILj64ELj64E21rocsparse_complex_numIfEEEviiiPKT1_S5_S5_PS3_.uses_flat_scratch, 0
	.set _ZN9rocsparseL37gtsv_nopivot_crpcr_pow2_shared_kernelILj64ELj64E21rocsparse_complex_numIfEEEviiiPKT1_S5_S5_PS3_.has_dyn_sized_stack, 0
	.set _ZN9rocsparseL37gtsv_nopivot_crpcr_pow2_shared_kernelILj64ELj64E21rocsparse_complex_numIfEEEviiiPKT1_S5_S5_PS3_.has_recursion, 0
	.set _ZN9rocsparseL37gtsv_nopivot_crpcr_pow2_shared_kernelILj64ELj64E21rocsparse_complex_numIfEEEviiiPKT1_S5_S5_PS3_.has_indirect_call, 0
	.section	.AMDGPU.csdata,"",@progbits
; Kernel info:
; codeLenInByte = 4312
; TotalNumSgprs: 20
; NumVgprs: 38
; ScratchSize: 0
; MemoryBound: 0
; FloatMode: 240
; IeeeMode: 1
; LDSByteSize: 7680 bytes/workgroup (compile time only)
; SGPRBlocks: 12
; VGPRBlocks: 21
; NumSGPRsForWavesPerEU: 102
; NumVGPRsForWavesPerEU: 85
; Occupancy: 2
; WaveLimiterHint : 1
; COMPUTE_PGM_RSRC2:SCRATCH_EN: 0
; COMPUTE_PGM_RSRC2:USER_SGPR: 6
; COMPUTE_PGM_RSRC2:TRAP_HANDLER: 0
; COMPUTE_PGM_RSRC2:TGID_X_EN: 1
; COMPUTE_PGM_RSRC2:TGID_Y_EN: 0
; COMPUTE_PGM_RSRC2:TGID_Z_EN: 0
; COMPUTE_PGM_RSRC2:TIDIG_COMP_CNT: 0
	.section	.text._ZN9rocsparseL37gtsv_nopivot_crpcr_pow2_shared_kernelILj128ELj64E21rocsparse_complex_numIfEEEviiiPKT1_S5_S5_PS3_,"axG",@progbits,_ZN9rocsparseL37gtsv_nopivot_crpcr_pow2_shared_kernelILj128ELj64E21rocsparse_complex_numIfEEEviiiPKT1_S5_S5_PS3_,comdat
	.globl	_ZN9rocsparseL37gtsv_nopivot_crpcr_pow2_shared_kernelILj128ELj64E21rocsparse_complex_numIfEEEviiiPKT1_S5_S5_PS3_ ; -- Begin function _ZN9rocsparseL37gtsv_nopivot_crpcr_pow2_shared_kernelILj128ELj64E21rocsparse_complex_numIfEEEviiiPKT1_S5_S5_PS3_
	.p2align	8
	.type	_ZN9rocsparseL37gtsv_nopivot_crpcr_pow2_shared_kernelILj128ELj64E21rocsparse_complex_numIfEEEviiiPKT1_S5_S5_PS3_,@function
_ZN9rocsparseL37gtsv_nopivot_crpcr_pow2_shared_kernelILj128ELj64E21rocsparse_complex_numIfEEEviiiPKT1_S5_S5_PS3_: ; @_ZN9rocsparseL37gtsv_nopivot_crpcr_pow2_shared_kernelILj128ELj64E21rocsparse_complex_numIfEEEviiiPKT1_S5_S5_PS3_
; %bb.0:
	s_load_dwordx8 s[8:15], s[4:5], 0x10
	s_load_dword s0, s[4:5], 0x8
	v_mov_b32_e32 v4, 0
	v_lshlrev_b32_e32 v13, 3, v0
	v_add_u32_e32 v6, 1, v0
	s_waitcnt lgkmcnt(0)
	v_mov_b32_e32 v5, s15
	s_mul_i32 s0, s0, s6
	v_add_u32_e32 v3, s0, v0
	v_lshlrev_b64 v[1:2], 3, v[3:4]
	v_add_u32_e32 v3, 0x80, v3
	v_add_co_u32_e32 v1, vcc, s14, v1
	v_lshlrev_b64 v[3:4], 3, v[3:4]
	v_addc_co_u32_e32 v2, vcc, v5, v2, vcc
	v_add_co_u32_e32 v3, vcc, s14, v3
	global_load_dwordx2 v[7:8], v13, s[8:9]
	global_load_dwordx2 v[9:10], v13, s[8:9] offset:1024
	global_load_dwordx2 v[11:12], v13, s[10:11]
	global_load_dwordx2 v[14:15], v13, s[12:13]
	global_load_dwordx2 v[16:17], v13, s[10:11] offset:1024
	global_load_dwordx2 v[18:19], v13, s[12:13] offset:1024
	v_addc_co_u32_e32 v4, vcc, v5, v4, vcc
	global_load_dwordx2 v[20:21], v[1:2], off
	global_load_dwordx2 v[22:23], v[3:4], off
	s_movk_i32 s0, 0x80
	v_cmp_gt_u32_e64 s[0:1], s0, v0
	s_waitcnt vmcnt(6)
	ds_write2st64_b64 v13, v[7:8], v[9:10] offset1:2
	s_waitcnt vmcnt(3)
	ds_write2st64_b64 v13, v[11:12], v[16:17] offset0:4 offset1:6
	s_waitcnt vmcnt(2)
	ds_write2st64_b64 v13, v[14:15], v[18:19] offset0:8 offset1:10
	;; [unrolled: 2-line block ×3, first 2 shown]
	s_waitcnt lgkmcnt(0)
	s_barrier
	s_and_saveexec_b64 s[4:5], s[0:1]
	s_cbranch_execz .LBB57_2
; %bb.1:
	v_lshlrev_b32_e32 v26, 4, v6
	v_lshlrev_b32_e32 v5, 1, v6
	ds_read2_b64 v[7:10], v26 offset0:254 offset1:255
	v_min_u32_e32 v5, 0xff, v5
	v_lshlrev_b32_e32 v5, 3, v5
	ds_read_b128 v[14:17], v26 offset:4080
	ds_read2st64_b64 v[18:21], v5 offset1:4
	v_add_u32_e32 v30, -8, v26
	s_waitcnt lgkmcnt(2)
	v_mul_f32_e32 v27, v8, v8
	v_fmac_f32_e32 v27, v7, v7
	v_div_scale_f32 v22, s[2:3], v27, v27, 1.0
	s_waitcnt lgkmcnt(0)
	v_mul_f32_e32 v28, v21, v21
	v_fmac_f32_e32 v28, v20, v20
	v_div_scale_f32 v23, s[2:3], v28, v28, 1.0
	v_div_scale_f32 v24, vcc, 1.0, v27, 1.0
	v_div_scale_f32 v25, s[2:3], 1.0, v28, 1.0
	ds_read_b64 v[11:12], v30
	v_rcp_f32_e32 v29, v22
	v_rcp_f32_e32 v31, v23
	v_fma_f32 v32, -v22, v29, 1.0
	v_fmac_f32_e32 v29, v32, v29
	v_mul_f32_e32 v32, v24, v29
	v_fma_f32 v33, -v23, v31, 1.0
	v_fma_f32 v34, -v22, v32, v24
	v_fmac_f32_e32 v31, v33, v31
	v_fmac_f32_e32 v32, v34, v29
	v_mul_f32_e32 v33, v25, v31
	v_fma_f32 v22, -v22, v32, v24
	v_fma_f32 v24, -v23, v33, v25
	v_fmac_f32_e32 v33, v24, v31
	v_div_fmas_f32 v29, v22, v29, v32
	v_fma_f32 v22, -v23, v33, v25
	s_mov_b64 vcc, s[2:3]
	v_div_fmas_f32 v31, v22, v31, v33
	ds_read_b128 v[22:25], v26 offset:8176
	s_waitcnt lgkmcnt(1)
	v_mul_f32_e32 v33, v8, v12
	v_mul_f32_e64 v8, v8, -v11
	v_fmac_f32_e32 v33, v11, v7
	v_fmac_f32_e32 v8, v12, v7
	v_mul_f32_e32 v7, v21, v17
	v_mul_f32_e64 v11, v21, -v16
	v_fmac_f32_e32 v7, v16, v20
	v_fmac_f32_e32 v11, v17, v20
	v_add_u32_e32 v32, -16, v26
	v_div_fixup_f32 v12, v29, v27, 1.0
	v_mul_f32_e32 v17, v8, v12
	v_mul_f32_e32 v16, v12, v33
	v_div_fixup_f32 v8, v31, v28, 1.0
	v_mul_f32_e32 v20, v8, v7
	v_mul_f32_e32 v21, v11, v8
	v_mul_f32_e64 v7, v17, -v15
	v_mul_f32_e32 v8, v17, v14
	v_fmac_f32_e32 v7, v14, v16
	v_fmac_f32_e32 v8, v15, v16
	v_sub_f32_e32 v7, v9, v7
	v_sub_f32_e32 v8, v10, v8
	v_mul_f32_e64 v9, v21, -v19
	v_mul_f32_e32 v10, v21, v18
	v_fmac_f32_e32 v9, v18, v20
	v_fmac_f32_e32 v10, v19, v20
	v_sub_f32_e32 v11, v7, v9
	v_sub_f32_e32 v12, v8, v10
	s_waitcnt lgkmcnt(0)
	v_mul_f32_e64 v14, v17, -v23
	ds_read2st64_b64 v[7:10], v5 offset0:8 offset1:16
	v_fmac_f32_e32 v14, v22, v16
	v_sub_f32_e32 v18, v24, v14
	ds_read_b64 v[14:15], v32
	v_mul_f32_e32 v5, v17, v22
	v_fmac_f32_e32 v5, v23, v16
	s_waitcnt lgkmcnt(1)
	v_mul_f32_e64 v19, v21, -v10
	v_mul_f32_e32 v22, v21, v9
	v_sub_f32_e32 v5, v25, v5
	v_fmac_f32_e32 v19, v9, v20
	v_fmac_f32_e32 v22, v10, v20
	v_sub_f32_e32 v9, v18, v19
	v_sub_f32_e32 v10, v5, v22
	s_waitcnt lgkmcnt(0)
	v_mul_f32_e32 v5, v17, v15
	ds_write_b64 v26, v[9:10] offset:8184
	v_fma_f32 v9, -v14, v16, v5
	v_mul_f32_e64 v5, v17, -v14
	v_fma_f32 v10, -v15, v16, v5
	v_mul_f32_e32 v5, v21, v8
	ds_write_b64 v30, v[9:10]
	v_fma_f32 v9, -v7, v20, v5
	v_mul_f32_e64 v5, v21, -v7
	v_fma_f32 v10, -v8, v20, v5
	v_add_u32_e32 v5, 0x1f8, v26
	ds_write2st64_b64 v5, v[11:12], v[9:10] offset0:3 offset1:7
.LBB57_2:
	s_or_b64 exec, exec, s[4:5]
	v_cmp_gt_u32_e64 s[2:3], 64, v0
	v_lshlrev_b32_e32 v14, 5, v6
	s_waitcnt lgkmcnt(0)
	s_barrier
	s_and_saveexec_b64 s[6:7], s[2:3]
	s_cbranch_execz .LBB57_4
; %bb.3:
	ds_read2_b64 v[7:10], v14 offset0:253 offset1:255
	v_lshl_or_b32 v5, v6, 2, 1
	v_min_u32_e32 v5, 0xff, v5
	v_lshlrev_b32_e32 v5, 3, v5
	ds_read2st64_b64 v[15:18], v5 offset1:4
	s_waitcnt lgkmcnt(1)
	v_mul_f32_e32 v25, v8, v8
	v_fmac_f32_e32 v25, v7, v7
	v_div_scale_f32 v19, s[4:5], v25, v25, 1.0
	s_waitcnt lgkmcnt(0)
	v_mul_f32_e32 v26, v18, v18
	v_fmac_f32_e32 v26, v17, v17
	v_div_scale_f32 v20, s[4:5], v26, v26, 1.0
	v_div_scale_f32 v21, vcc, 1.0, v25, 1.0
	v_div_scale_f32 v22, s[4:5], 1.0, v26, 1.0
	v_add_u32_e32 v27, -8, v14
	ds_read_b64 v[11:12], v27
	v_rcp_f32_e32 v23, v19
	v_rcp_f32_e32 v24, v20
	v_fma_f32 v28, -v19, v23, 1.0
	v_fmac_f32_e32 v23, v28, v23
	v_mul_f32_e32 v28, v21, v23
	v_fma_f32 v29, -v19, v28, v21
	v_fma_f32 v30, -v20, v24, 1.0
	v_fmac_f32_e32 v28, v29, v23
	v_fmac_f32_e32 v24, v30, v24
	v_fma_f32 v19, -v19, v28, v21
	v_mul_f32_e32 v21, v22, v24
	v_div_fmas_f32 v28, v19, v23, v28
	v_fma_f32 v19, -v20, v21, v22
	v_fmac_f32_e32 v21, v19, v24
	v_fma_f32 v19, -v20, v21, v22
	s_mov_b64 vcc, s[4:5]
	v_div_fmas_f32 v29, v19, v24, v21
	v_subrev_u32_e32 v23, 24, v14
	v_add_u32_e32 v19, 0x800, v14
	ds_read2_b64 v[19:22], v19 offset0:253 offset1:255
	ds_read_b64 v[23:24], v23
	s_waitcnt lgkmcnt(2)
	v_mul_f32_e32 v30, v8, v12
	v_mul_f32_e64 v8, v8, -v11
	v_fmac_f32_e32 v30, v11, v7
	v_fmac_f32_e32 v8, v12, v7
	s_waitcnt lgkmcnt(1)
	v_mul_f32_e32 v7, v18, v22
	v_mul_f32_e64 v11, v18, -v21
	v_fmac_f32_e32 v7, v21, v17
	v_div_fixup_f32 v12, v28, v25, 1.0
	v_fmac_f32_e32 v11, v22, v17
	v_mul_f32_e32 v22, v8, v12
	v_mul_f32_e32 v21, v12, v30
	v_div_fixup_f32 v8, v29, v26, 1.0
	v_mul_f32_e32 v25, v8, v7
	v_mul_f32_e64 v7, v22, -v20
	v_mul_f32_e32 v26, v11, v8
	v_fmac_f32_e32 v7, v19, v21
	v_mul_f32_e32 v8, v22, v19
	v_fmac_f32_e32 v8, v20, v21
	v_sub_f32_e32 v11, v9, v7
	v_mul_f32_e64 v17, v26, -v16
	v_add_u32_e32 v7, 0x1800, v14
	v_sub_f32_e32 v12, v10, v8
	v_fmac_f32_e32 v17, v15, v25
	ds_read2_b64 v[7:10], v7 offset0:253 offset1:255
	v_mul_f32_e32 v15, v26, v15
	v_fmac_f32_e32 v15, v16, v25
	v_sub_f32_e32 v11, v11, v17
	v_sub_f32_e32 v12, v12, v15
	ds_read2st64_b64 v[15:18], v5 offset0:8 offset1:16
	s_waitcnt lgkmcnt(1)
	v_mul_f32_e64 v19, v22, -v8
	v_fmac_f32_e32 v19, v7, v21
	v_mul_f32_e32 v5, v22, v7
	v_fmac_f32_e32 v5, v8, v21
	v_sub_f32_e32 v7, v9, v19
	s_waitcnt lgkmcnt(0)
	v_mul_f32_e64 v8, v26, -v18
	v_mul_f32_e32 v9, v26, v17
	v_sub_f32_e32 v5, v10, v5
	v_fmac_f32_e32 v8, v17, v25
	v_fmac_f32_e32 v9, v18, v25
	v_sub_f32_e32 v7, v7, v8
	v_sub_f32_e32 v8, v5, v9
	v_mul_f32_e32 v5, v22, v24
	ds_write_b64 v14, v[7:8] offset:8184
	v_fma_f32 v7, -v23, v21, v5
	v_mul_f32_e64 v5, v22, -v23
	v_fma_f32 v8, -v24, v21, v5
	v_mul_f32_e32 v5, v26, v16
	ds_write_b64 v27, v[7:8]
	v_fma_f32 v7, -v15, v25, v5
	v_mul_f32_e64 v5, v26, -v15
	v_fma_f32 v8, -v16, v25, v5
	v_add_u32_e32 v5, 0x1f8, v14
	ds_write2st64_b64 v5, v[11:12], v[7:8] offset0:3 offset1:7
.LBB57_4:
	s_or_b64 exec, exec, s[6:7]
	s_waitcnt lgkmcnt(0)
	s_barrier
	s_and_saveexec_b64 s[4:5], s[2:3]
	s_cbranch_execz .LBB57_6
; %bb.5:
	v_add_u32_e32 v7, 0x1f8, v14
	v_add_u32_e32 v5, -8, v14
	ds_read2st64_b64 v[7:10], v7 offset0:3 offset1:7
	ds_read_b64 v[11:12], v5
	ds_read_b64 v[15:16], v14 offset:8184
	s_waitcnt lgkmcnt(1)
	ds_write2st64_b64 v13, v[11:12], v[7:8] offset0:20 offset1:21
	s_waitcnt lgkmcnt(1)
	ds_write2st64_b64 v13, v[9:10], v[15:16] offset0:22 offset1:24
.LBB57_6:
	s_or_b64 exec, exec, s[4:5]
	v_or_b32_e32 v16, 0x2800, v13
	v_or_b32_e32 v17, 0x2c00, v13
	v_add_u32_e32 v18, 0x2a00, v13
	v_or_b32_e32 v15, 0x3000, v13
	s_waitcnt lgkmcnt(0)
	s_barrier
                                        ; implicit-def: $vgpr7
                                        ; implicit-def: $vgpr11
                                        ; implicit-def: $vgpr5
                                        ; implicit-def: $vgpr9
	s_and_saveexec_b64 s[6:7], s[2:3]
	s_cbranch_execz .LBB57_8
; %bb.7:
	v_sub_u32_e64 v5, v0, 1 clamp
	v_lshlrev_b32_e32 v9, 3, v5
	v_min_u32_e32 v5, 63, v6
	ds_read2st64_b64 v[19:22], v9 offset0:20 offset1:21
	v_lshlrev_b32_e32 v31, 3, v5
	ds_read2st64_b64 v[5:8], v31 offset0:20 offset1:21
	s_waitcnt lgkmcnt(1)
	v_mul_f32_e32 v32, v22, v22
	v_fmac_f32_e32 v32, v21, v21
	s_waitcnt lgkmcnt(0)
	v_mul_f32_e32 v33, v8, v8
	v_div_scale_f32 v10, s[4:5], v32, v32, 1.0
	v_fmac_f32_e32 v33, v7, v7
	v_div_scale_f32 v11, s[4:5], v33, v33, 1.0
	v_div_scale_f32 v12, vcc, 1.0, v32, 1.0
	v_div_scale_f32 v23, s[4:5], 1.0, v33, 1.0
	v_rcp_f32_e32 v24, v10
	v_rcp_f32_e32 v25, v11
	v_fma_f32 v26, -v10, v24, 1.0
	v_fmac_f32_e32 v24, v26, v24
	v_mul_f32_e32 v26, v12, v24
	v_fma_f32 v27, -v11, v25, 1.0
	v_fmac_f32_e32 v25, v27, v25
	v_mul_f32_e32 v27, v23, v25
	v_fma_f32 v28, -v10, v26, v12
	v_fma_f32 v29, -v11, v27, v23
	v_fmac_f32_e32 v26, v28, v24
	v_fmac_f32_e32 v27, v29, v25
	v_fma_f32 v10, -v10, v26, v12
	v_fma_f32 v11, -v11, v27, v23
	v_div_fmas_f32 v34, v10, v24, v26
	s_mov_b64 vcc, s[4:5]
	v_div_fmas_f32 v35, v11, v25, v27
	ds_read_b64 v[23:24], v16
	ds_read_b64 v[25:26], v17
	;; [unrolled: 1-line block ×4, first 2 shown]
	ds_read2st64_b64 v[9:12], v9 offset0:22 offset1:24
	s_waitcnt lgkmcnt(4)
	v_mul_f32_e32 v36, v22, v24
	v_mul_f32_e64 v22, v22, -v23
	s_waitcnt lgkmcnt(3)
	v_mul_f32_e32 v37, v8, v26
	v_mul_f32_e64 v8, v8, -v25
	v_fmac_f32_e32 v36, v23, v21
	v_fmac_f32_e32 v22, v24, v21
	;; [unrolled: 1-line block ×4, first 2 shown]
	v_div_fixup_f32 v7, v34, v32, 1.0
	v_mul_f32_e32 v25, v7, v36
	v_mul_f32_e32 v26, v22, v7
	v_div_fixup_f32 v7, v35, v33, 1.0
	ds_read2st64_b64 v[21:24], v31 offset0:22 offset1:24
	v_mul_f32_e32 v32, v7, v37
	v_mul_f32_e32 v33, v8, v7
	s_waitcnt lgkmcnt(1)
	v_mul_f32_e64 v7, v26, -v10
	v_mul_f32_e32 v8, v26, v9
	v_fmac_f32_e32 v7, v9, v25
	v_fmac_f32_e32 v8, v10, v25
	v_mul_f32_e64 v9, v33, -v6
	v_mul_f32_e32 v10, v33, v5
	v_sub_f32_e32 v7, v27, v7
	v_sub_f32_e32 v8, v28, v8
	v_fmac_f32_e32 v9, v5, v32
	v_fmac_f32_e32 v10, v6, v32
	v_sub_f32_e32 v5, v7, v9
	v_sub_f32_e32 v6, v8, v10
	v_mul_f32_e64 v7, v26, -v12
	v_mul_f32_e32 v8, v26, v11
	v_fmac_f32_e32 v7, v11, v25
	v_fmac_f32_e32 v8, v12, v25
	s_waitcnt lgkmcnt(0)
	v_mul_f32_e64 v9, v33, -v24
	v_mul_f32_e32 v10, v33, v23
	v_sub_f32_e32 v7, v29, v7
	v_sub_f32_e32 v8, v30, v8
	v_fmac_f32_e32 v9, v23, v32
	v_fmac_f32_e32 v10, v24, v32
	v_sub_f32_e32 v7, v7, v9
	v_sub_f32_e32 v8, v8, v10
	v_mul_f32_e32 v9, v26, v20
	v_mul_f32_e64 v10, v26, -v19
	v_mul_f32_e32 v11, v33, v22
	v_mul_f32_e64 v12, v33, -v21
	v_fma_f32 v9, -v19, v25, v9
	v_fma_f32 v10, -v20, v25, v10
	;; [unrolled: 1-line block ×4, first 2 shown]
.LBB57_8:
	s_or_b64 exec, exec, s[6:7]
	s_barrier
	s_and_saveexec_b64 s[4:5], s[2:3]
	s_cbranch_execz .LBB57_10
; %bb.9:
	ds_write_b64 v18, v[5:6]
	ds_write_b64 v15, v[7:8]
	;; [unrolled: 1-line block ×4, first 2 shown]
.LBB57_10:
	s_or_b64 exec, exec, s[4:5]
	s_waitcnt lgkmcnt(0)
	s_barrier
	s_and_saveexec_b64 s[6:7], s[2:3]
	s_cbranch_execz .LBB57_12
; %bb.11:
	v_sub_u32_e64 v5, v0, 2 clamp
	v_lshlrev_b32_e32 v9, 3, v5
	v_min_u32_e32 v5, 61, v0
	v_lshlrev_b32_e32 v5, 3, v5
	ds_read2st64_b64 v[19:22], v9 offset0:20 offset1:21
	v_add_u32_e32 v31, 16, v5
	ds_read2st64_b64 v[5:8], v31 offset0:20 offset1:21
	s_waitcnt lgkmcnt(1)
	v_mul_f32_e32 v32, v22, v22
	v_fmac_f32_e32 v32, v21, v21
	s_waitcnt lgkmcnt(0)
	v_mul_f32_e32 v33, v8, v8
	v_div_scale_f32 v10, s[4:5], v32, v32, 1.0
	v_fmac_f32_e32 v33, v7, v7
	v_div_scale_f32 v11, s[4:5], v33, v33, 1.0
	v_div_scale_f32 v12, vcc, 1.0, v32, 1.0
	v_div_scale_f32 v23, s[4:5], 1.0, v33, 1.0
	v_rcp_f32_e32 v24, v10
	v_rcp_f32_e32 v25, v11
	v_fma_f32 v26, -v10, v24, 1.0
	v_fmac_f32_e32 v24, v26, v24
	v_mul_f32_e32 v27, v12, v24
	v_fma_f32 v26, -v11, v25, 1.0
	v_fmac_f32_e32 v25, v26, v25
	v_fma_f32 v26, -v10, v27, v12
	v_mul_f32_e32 v28, v23, v25
	v_fmac_f32_e32 v27, v26, v24
	v_fma_f32 v26, -v11, v28, v23
	v_fma_f32 v10, -v10, v27, v12
	v_fmac_f32_e32 v28, v26, v25
	v_div_fmas_f32 v34, v10, v24, v27
	v_fma_f32 v10, -v11, v28, v23
	s_mov_b64 vcc, s[4:5]
	v_div_fmas_f32 v35, v10, v25, v28
	ds_read_b64 v[23:24], v16
	ds_read_b64 v[25:26], v17
	;; [unrolled: 1-line block ×4, first 2 shown]
	ds_read2st64_b64 v[9:12], v9 offset0:22 offset1:24
	s_waitcnt lgkmcnt(4)
	v_mul_f32_e32 v36, v22, v24
	v_mul_f32_e64 v22, v22, -v23
	v_fmac_f32_e32 v36, v23, v21
	v_fmac_f32_e32 v22, v24, v21
	s_waitcnt lgkmcnt(3)
	v_mul_f32_e32 v21, v8, v26
	v_mul_f32_e64 v8, v8, -v25
	v_fmac_f32_e32 v21, v25, v7
	v_fmac_f32_e32 v8, v26, v7
	v_div_fixup_f32 v23, v34, v32, 1.0
	v_mul_f32_e32 v32, v22, v23
	v_mul_f32_e32 v25, v23, v36
	v_div_fixup_f32 v22, v35, v33, 1.0
	v_mul_f32_e32 v33, v22, v21
	v_mul_f32_e32 v26, v8, v22
	ds_read2st64_b64 v[21:24], v31 offset0:22 offset1:24
	s_waitcnt lgkmcnt(1)
	v_mul_f32_e64 v7, v32, -v10
	v_mul_f32_e32 v8, v32, v9
	v_fmac_f32_e32 v7, v9, v25
	v_fmac_f32_e32 v8, v10, v25
	v_mul_f32_e64 v9, v26, -v6
	v_mul_f32_e32 v10, v26, v5
	v_sub_f32_e32 v7, v27, v7
	v_sub_f32_e32 v8, v28, v8
	v_fmac_f32_e32 v9, v5, v33
	v_fmac_f32_e32 v10, v6, v33
	v_sub_f32_e32 v5, v7, v9
	v_sub_f32_e32 v6, v8, v10
	v_mul_f32_e64 v7, v32, -v12
	v_mul_f32_e32 v8, v32, v11
	v_fmac_f32_e32 v7, v11, v25
	v_fmac_f32_e32 v8, v12, v25
	s_waitcnt lgkmcnt(0)
	v_mul_f32_e64 v9, v26, -v24
	v_mul_f32_e32 v10, v26, v23
	v_sub_f32_e32 v7, v29, v7
	v_sub_f32_e32 v8, v30, v8
	v_fmac_f32_e32 v9, v23, v33
	v_fmac_f32_e32 v10, v24, v33
	v_sub_f32_e32 v7, v7, v9
	v_sub_f32_e32 v8, v8, v10
	v_mul_f32_e32 v9, v32, v20
	v_mul_f32_e64 v10, v32, -v19
	v_mul_f32_e32 v11, v26, v22
	v_mul_f32_e64 v12, v26, -v21
	v_fma_f32 v9, -v19, v25, v9
	v_fma_f32 v10, -v20, v25, v10
	;; [unrolled: 1-line block ×4, first 2 shown]
.LBB57_12:
	s_or_b64 exec, exec, s[6:7]
	s_barrier
	s_and_saveexec_b64 s[4:5], s[2:3]
	s_cbranch_execz .LBB57_14
; %bb.13:
	ds_write_b64 v18, v[5:6]
	ds_write_b64 v15, v[7:8]
	;; [unrolled: 1-line block ×4, first 2 shown]
.LBB57_14:
	s_or_b64 exec, exec, s[4:5]
	s_waitcnt lgkmcnt(0)
	s_barrier
	s_and_saveexec_b64 s[6:7], s[2:3]
	s_cbranch_execz .LBB57_16
; %bb.15:
	v_sub_u32_e64 v5, v0, 4 clamp
	v_lshlrev_b32_e32 v9, 3, v5
	v_min_u32_e32 v5, 59, v0
	v_lshlrev_b32_e32 v5, 3, v5
	ds_read2st64_b64 v[19:22], v9 offset0:20 offset1:21
	v_add_u32_e32 v31, 32, v5
	ds_read2st64_b64 v[5:8], v31 offset0:20 offset1:21
	s_waitcnt lgkmcnt(1)
	v_mul_f32_e32 v32, v22, v22
	v_fmac_f32_e32 v32, v21, v21
	s_waitcnt lgkmcnt(0)
	v_mul_f32_e32 v33, v8, v8
	v_div_scale_f32 v10, s[4:5], v32, v32, 1.0
	v_fmac_f32_e32 v33, v7, v7
	v_div_scale_f32 v11, s[4:5], v33, v33, 1.0
	v_div_scale_f32 v12, vcc, 1.0, v32, 1.0
	v_div_scale_f32 v23, s[4:5], 1.0, v33, 1.0
	v_rcp_f32_e32 v24, v10
	v_rcp_f32_e32 v25, v11
	v_fma_f32 v26, -v10, v24, 1.0
	v_fmac_f32_e32 v24, v26, v24
	v_mul_f32_e32 v27, v12, v24
	v_fma_f32 v26, -v11, v25, 1.0
	v_fmac_f32_e32 v25, v26, v25
	v_fma_f32 v26, -v10, v27, v12
	v_mul_f32_e32 v28, v23, v25
	v_fmac_f32_e32 v27, v26, v24
	v_fma_f32 v26, -v11, v28, v23
	v_fma_f32 v10, -v10, v27, v12
	v_fmac_f32_e32 v28, v26, v25
	v_div_fmas_f32 v34, v10, v24, v27
	v_fma_f32 v10, -v11, v28, v23
	s_mov_b64 vcc, s[4:5]
	v_div_fmas_f32 v35, v10, v25, v28
	ds_read_b64 v[23:24], v16
	ds_read_b64 v[25:26], v17
	;; [unrolled: 1-line block ×4, first 2 shown]
	ds_read2st64_b64 v[9:12], v9 offset0:22 offset1:24
	s_waitcnt lgkmcnt(4)
	v_mul_f32_e32 v36, v22, v24
	v_mul_f32_e64 v22, v22, -v23
	v_fmac_f32_e32 v36, v23, v21
	v_fmac_f32_e32 v22, v24, v21
	s_waitcnt lgkmcnt(3)
	v_mul_f32_e32 v21, v8, v26
	v_mul_f32_e64 v8, v8, -v25
	v_fmac_f32_e32 v21, v25, v7
	v_fmac_f32_e32 v8, v26, v7
	v_div_fixup_f32 v23, v34, v32, 1.0
	v_mul_f32_e32 v32, v22, v23
	v_mul_f32_e32 v25, v23, v36
	v_div_fixup_f32 v22, v35, v33, 1.0
	v_mul_f32_e32 v33, v22, v21
	v_mul_f32_e32 v26, v8, v22
	ds_read2st64_b64 v[21:24], v31 offset0:22 offset1:24
	s_waitcnt lgkmcnt(1)
	v_mul_f32_e64 v7, v32, -v10
	v_mul_f32_e32 v8, v32, v9
	v_fmac_f32_e32 v7, v9, v25
	v_fmac_f32_e32 v8, v10, v25
	v_mul_f32_e64 v9, v26, -v6
	v_mul_f32_e32 v10, v26, v5
	v_sub_f32_e32 v7, v27, v7
	v_sub_f32_e32 v8, v28, v8
	v_fmac_f32_e32 v9, v5, v33
	v_fmac_f32_e32 v10, v6, v33
	v_sub_f32_e32 v5, v7, v9
	v_sub_f32_e32 v6, v8, v10
	v_mul_f32_e64 v7, v32, -v12
	v_mul_f32_e32 v8, v32, v11
	v_fmac_f32_e32 v7, v11, v25
	v_fmac_f32_e32 v8, v12, v25
	s_waitcnt lgkmcnt(0)
	v_mul_f32_e64 v9, v26, -v24
	v_mul_f32_e32 v10, v26, v23
	v_sub_f32_e32 v7, v29, v7
	v_sub_f32_e32 v8, v30, v8
	v_fmac_f32_e32 v9, v23, v33
	v_fmac_f32_e32 v10, v24, v33
	v_sub_f32_e32 v7, v7, v9
	v_sub_f32_e32 v8, v8, v10
	v_mul_f32_e32 v9, v32, v20
	v_mul_f32_e64 v10, v32, -v19
	v_mul_f32_e32 v11, v26, v22
	v_mul_f32_e64 v12, v26, -v21
	v_fma_f32 v9, -v19, v25, v9
	v_fma_f32 v10, -v20, v25, v10
	v_fma_f32 v11, -v21, v33, v11
	v_fma_f32 v12, -v22, v33, v12
.LBB57_16:
	s_or_b64 exec, exec, s[6:7]
	s_barrier
	s_and_saveexec_b64 s[4:5], s[2:3]
	s_cbranch_execz .LBB57_18
; %bb.17:
	ds_write_b64 v18, v[5:6]
	ds_write_b64 v15, v[7:8]
	;; [unrolled: 1-line block ×4, first 2 shown]
.LBB57_18:
	s_or_b64 exec, exec, s[4:5]
	s_waitcnt lgkmcnt(0)
	s_barrier
	s_and_saveexec_b64 s[6:7], s[2:3]
	s_cbranch_execz .LBB57_20
; %bb.19:
	v_sub_u32_e64 v5, v0, 8 clamp
	v_lshlrev_b32_e32 v9, 3, v5
	v_min_u32_e32 v5, 55, v0
	v_lshlrev_b32_e32 v5, 3, v5
	ds_read2st64_b64 v[19:22], v9 offset0:20 offset1:21
	v_add_u32_e32 v31, 64, v5
	ds_read2st64_b64 v[5:8], v31 offset0:20 offset1:21
	s_waitcnt lgkmcnt(1)
	v_mul_f32_e32 v32, v22, v22
	v_fmac_f32_e32 v32, v21, v21
	s_waitcnt lgkmcnt(0)
	v_mul_f32_e32 v33, v8, v8
	v_div_scale_f32 v10, s[4:5], v32, v32, 1.0
	v_fmac_f32_e32 v33, v7, v7
	v_div_scale_f32 v11, s[4:5], v33, v33, 1.0
	v_div_scale_f32 v12, vcc, 1.0, v32, 1.0
	v_div_scale_f32 v23, s[4:5], 1.0, v33, 1.0
	v_rcp_f32_e32 v24, v10
	v_rcp_f32_e32 v25, v11
	v_fma_f32 v26, -v10, v24, 1.0
	v_fmac_f32_e32 v24, v26, v24
	v_mul_f32_e32 v27, v12, v24
	v_fma_f32 v26, -v11, v25, 1.0
	v_fmac_f32_e32 v25, v26, v25
	v_fma_f32 v26, -v10, v27, v12
	v_mul_f32_e32 v28, v23, v25
	v_fmac_f32_e32 v27, v26, v24
	v_fma_f32 v26, -v11, v28, v23
	v_fma_f32 v10, -v10, v27, v12
	v_fmac_f32_e32 v28, v26, v25
	v_div_fmas_f32 v34, v10, v24, v27
	v_fma_f32 v10, -v11, v28, v23
	s_mov_b64 vcc, s[4:5]
	v_div_fmas_f32 v35, v10, v25, v28
	ds_read_b64 v[23:24], v16
	ds_read_b64 v[25:26], v17
	;; [unrolled: 1-line block ×4, first 2 shown]
	ds_read2st64_b64 v[9:12], v9 offset0:22 offset1:24
	s_waitcnt lgkmcnt(4)
	v_mul_f32_e32 v36, v22, v24
	v_mul_f32_e64 v22, v22, -v23
	v_fmac_f32_e32 v36, v23, v21
	v_fmac_f32_e32 v22, v24, v21
	s_waitcnt lgkmcnt(3)
	v_mul_f32_e32 v21, v8, v26
	v_mul_f32_e64 v8, v8, -v25
	v_fmac_f32_e32 v21, v25, v7
	v_fmac_f32_e32 v8, v26, v7
	v_div_fixup_f32 v23, v34, v32, 1.0
	v_mul_f32_e32 v32, v22, v23
	v_mul_f32_e32 v25, v23, v36
	v_div_fixup_f32 v22, v35, v33, 1.0
	v_mul_f32_e32 v33, v22, v21
	v_mul_f32_e32 v26, v8, v22
	ds_read2st64_b64 v[21:24], v31 offset0:22 offset1:24
	s_waitcnt lgkmcnt(1)
	v_mul_f32_e64 v7, v32, -v10
	v_mul_f32_e32 v8, v32, v9
	v_fmac_f32_e32 v7, v9, v25
	v_fmac_f32_e32 v8, v10, v25
	v_mul_f32_e64 v9, v26, -v6
	v_mul_f32_e32 v10, v26, v5
	v_sub_f32_e32 v7, v27, v7
	v_sub_f32_e32 v8, v28, v8
	v_fmac_f32_e32 v9, v5, v33
	v_fmac_f32_e32 v10, v6, v33
	v_sub_f32_e32 v5, v7, v9
	v_sub_f32_e32 v6, v8, v10
	v_mul_f32_e64 v7, v32, -v12
	v_mul_f32_e32 v8, v32, v11
	v_fmac_f32_e32 v7, v11, v25
	v_fmac_f32_e32 v8, v12, v25
	s_waitcnt lgkmcnt(0)
	v_mul_f32_e64 v9, v26, -v24
	v_mul_f32_e32 v10, v26, v23
	v_sub_f32_e32 v7, v29, v7
	v_sub_f32_e32 v8, v30, v8
	v_fmac_f32_e32 v9, v23, v33
	v_fmac_f32_e32 v10, v24, v33
	v_sub_f32_e32 v7, v7, v9
	v_sub_f32_e32 v8, v8, v10
	v_mul_f32_e32 v9, v32, v20
	v_mul_f32_e64 v10, v32, -v19
	v_mul_f32_e32 v11, v26, v22
	v_mul_f32_e64 v12, v26, -v21
	v_fma_f32 v9, -v19, v25, v9
	v_fma_f32 v10, -v20, v25, v10
	;; [unrolled: 1-line block ×4, first 2 shown]
.LBB57_20:
	s_or_b64 exec, exec, s[6:7]
	s_barrier
	s_and_saveexec_b64 s[4:5], s[2:3]
	s_cbranch_execz .LBB57_22
; %bb.21:
	ds_write_b64 v18, v[5:6]
	ds_write_b64 v15, v[7:8]
	;; [unrolled: 1-line block ×4, first 2 shown]
.LBB57_22:
	s_or_b64 exec, exec, s[4:5]
	s_waitcnt lgkmcnt(0)
	s_barrier
	s_and_saveexec_b64 s[6:7], s[2:3]
	s_cbranch_execz .LBB57_24
; %bb.23:
	v_sub_u32_e64 v5, v0, 16 clamp
	v_lshlrev_b32_e32 v9, 3, v5
	v_min_u32_e32 v5, 47, v0
	v_lshlrev_b32_e32 v5, 3, v5
	ds_read2st64_b64 v[19:22], v9 offset0:20 offset1:21
	v_add_u32_e32 v31, 0x80, v5
	ds_read2st64_b64 v[5:8], v31 offset0:20 offset1:21
	s_waitcnt lgkmcnt(1)
	v_mul_f32_e32 v32, v22, v22
	v_fmac_f32_e32 v32, v21, v21
	s_waitcnt lgkmcnt(0)
	v_mul_f32_e32 v33, v8, v8
	v_div_scale_f32 v10, s[4:5], v32, v32, 1.0
	v_fmac_f32_e32 v33, v7, v7
	v_div_scale_f32 v11, s[4:5], v33, v33, 1.0
	v_div_scale_f32 v12, vcc, 1.0, v32, 1.0
	v_div_scale_f32 v23, s[4:5], 1.0, v33, 1.0
	v_rcp_f32_e32 v24, v10
	v_rcp_f32_e32 v25, v11
	v_fma_f32 v26, -v10, v24, 1.0
	v_fmac_f32_e32 v24, v26, v24
	v_mul_f32_e32 v27, v12, v24
	v_fma_f32 v26, -v11, v25, 1.0
	v_fmac_f32_e32 v25, v26, v25
	v_fma_f32 v26, -v10, v27, v12
	v_mul_f32_e32 v28, v23, v25
	v_fmac_f32_e32 v27, v26, v24
	v_fma_f32 v26, -v11, v28, v23
	v_fma_f32 v10, -v10, v27, v12
	v_fmac_f32_e32 v28, v26, v25
	v_div_fmas_f32 v34, v10, v24, v27
	v_fma_f32 v10, -v11, v28, v23
	s_mov_b64 vcc, s[4:5]
	v_div_fmas_f32 v35, v10, v25, v28
	ds_read_b64 v[23:24], v16
	ds_read_b64 v[25:26], v17
	;; [unrolled: 1-line block ×4, first 2 shown]
	ds_read2st64_b64 v[9:12], v9 offset0:22 offset1:24
	s_waitcnt lgkmcnt(4)
	v_mul_f32_e32 v36, v22, v24
	v_mul_f32_e64 v22, v22, -v23
	v_fmac_f32_e32 v36, v23, v21
	v_fmac_f32_e32 v22, v24, v21
	s_waitcnt lgkmcnt(3)
	v_mul_f32_e32 v21, v8, v26
	v_mul_f32_e64 v8, v8, -v25
	v_fmac_f32_e32 v21, v25, v7
	v_fmac_f32_e32 v8, v26, v7
	v_div_fixup_f32 v23, v34, v32, 1.0
	v_mul_f32_e32 v32, v22, v23
	v_mul_f32_e32 v25, v23, v36
	v_div_fixup_f32 v22, v35, v33, 1.0
	v_mul_f32_e32 v33, v22, v21
	v_mul_f32_e32 v26, v8, v22
	ds_read2st64_b64 v[21:24], v31 offset0:22 offset1:24
	s_waitcnt lgkmcnt(1)
	v_mul_f32_e64 v7, v32, -v10
	v_mul_f32_e32 v8, v32, v9
	v_fmac_f32_e32 v7, v9, v25
	v_fmac_f32_e32 v8, v10, v25
	v_mul_f32_e64 v9, v26, -v6
	v_mul_f32_e32 v10, v26, v5
	v_sub_f32_e32 v7, v27, v7
	v_sub_f32_e32 v8, v28, v8
	v_fmac_f32_e32 v9, v5, v33
	v_fmac_f32_e32 v10, v6, v33
	v_sub_f32_e32 v5, v7, v9
	v_sub_f32_e32 v6, v8, v10
	v_mul_f32_e64 v7, v32, -v12
	v_mul_f32_e32 v8, v32, v11
	v_fmac_f32_e32 v7, v11, v25
	v_fmac_f32_e32 v8, v12, v25
	s_waitcnt lgkmcnt(0)
	v_mul_f32_e64 v9, v26, -v24
	v_mul_f32_e32 v10, v26, v23
	v_sub_f32_e32 v7, v29, v7
	v_sub_f32_e32 v8, v30, v8
	v_fmac_f32_e32 v9, v23, v33
	v_fmac_f32_e32 v10, v24, v33
	v_sub_f32_e32 v7, v7, v9
	v_sub_f32_e32 v8, v8, v10
	v_mul_f32_e32 v9, v32, v20
	v_mul_f32_e64 v10, v32, -v19
	v_mul_f32_e32 v11, v26, v22
	v_mul_f32_e64 v12, v26, -v21
	v_fma_f32 v9, -v19, v25, v9
	v_fma_f32 v10, -v20, v25, v10
	;; [unrolled: 1-line block ×4, first 2 shown]
.LBB57_24:
	s_or_b64 exec, exec, s[6:7]
	s_barrier
	s_and_saveexec_b64 s[4:5], s[2:3]
	s_cbranch_execz .LBB57_26
; %bb.25:
	ds_write_b64 v18, v[5:6]
	ds_write_b64 v15, v[7:8]
	;; [unrolled: 1-line block ×4, first 2 shown]
.LBB57_26:
	s_or_b64 exec, exec, s[4:5]
	v_cmp_gt_u32_e32 vcc, 32, v0
	s_waitcnt lgkmcnt(0)
	s_barrier
	s_and_saveexec_b64 s[4:5], vcc
	s_cbranch_execz .LBB57_28
; %bb.27:
	ds_read2_b64 v[5:8], v18 offset1:32
	ds_read_b64 v[17:18], v17
	ds_read_b64 v[19:20], v16 offset:256
	s_waitcnt lgkmcnt(2)
	v_mul_f32_e32 v10, v6, v7
	v_mul_f32_e64 v9, v6, -v8
	s_waitcnt lgkmcnt(0)
	v_mul_f32_e32 v12, v20, v17
	v_fmac_f32_e32 v10, v8, v5
	v_mul_f32_e64 v11, v20, -v18
	v_fmac_f32_e32 v12, v18, v19
	v_fmac_f32_e32 v9, v7, v5
	;; [unrolled: 1-line block ×3, first 2 shown]
	v_sub_f32_e32 v21, v10, v12
	v_sub_f32_e32 v16, v9, v11
	v_mul_f32_e32 v22, v21, v21
	v_fmac_f32_e32 v22, v16, v16
	v_div_scale_f32 v23, s[6:7], v22, v22, 1.0
	v_div_scale_f32 v24, vcc, 1.0, v22, 1.0
	ds_read2_b64 v[9:12], v15 offset1:32
	s_waitcnt lgkmcnt(0)
	v_mul_f32_e64 v15, v10, -v8
	v_mul_f32_e32 v25, v10, v7
	v_mul_f32_e64 v27, v12, -v18
	v_mul_f32_e32 v28, v12, v17
	v_mul_f32_e64 v29, v6, -v12
	v_fmac_f32_e32 v15, v7, v9
	v_fmac_f32_e32 v25, v8, v9
	v_rcp_f32_e32 v26, v23
	v_fmac_f32_e32 v27, v17, v11
	v_fmac_f32_e32 v28, v18, v11
	;; [unrolled: 1-line block ×3, first 2 shown]
	v_fma_f32 v30, -v23, v26, 1.0
	v_fmac_f32_e32 v26, v30, v26
	v_mul_f32_e32 v30, v24, v26
	v_fma_f32 v31, -v23, v30, v24
	v_fmac_f32_e32 v30, v31, v26
	v_fma_f32 v23, -v23, v30, v24
	v_div_fmas_f32 v23, v23, v26, v30
	v_mul_f32_e32 v24, v6, v11
	v_mul_f32_e64 v26, v20, -v10
	v_mul_f32_e32 v20, v20, v9
	v_fmac_f32_e32 v24, v12, v5
	v_fmac_f32_e32 v26, v9, v19
	v_fma_f32 v5, 0, v21, v16
	v_fma_f32 v6, v16, 0, -v21
	v_fmac_f32_e32 v20, v10, v19
	v_sub_f32_e32 v7, v15, v27
	v_sub_f32_e32 v8, v25, v28
	;; [unrolled: 1-line block ×3, first 2 shown]
	v_div_fixup_f32 v9, v23, v22, 1.0
	v_mul_f32_e32 v10, v5, v9
	v_mul_f32_e32 v9, v6, v9
	v_mul_f32_e64 v5, v9, -v8
	v_mul_f32_e32 v6, v9, v7
	v_fmac_f32_e32 v5, v7, v10
	v_fmac_f32_e32 v6, v8, v10
	v_sub_f32_e32 v8, v29, v26
	v_mul_f32_e64 v7, v9, -v11
	v_fmac_f32_e32 v7, v8, v10
	v_mul_f32_e32 v8, v9, v8
	v_fmac_f32_e32 v8, v11, v10
	v_add_u32_e32 v9, 0x2800, v13
	ds_write2_b64 v9, v[5:6], v[7:8] offset0:192 offset1:224
.LBB57_28:
	s_or_b64 exec, exec, s[4:5]
	s_waitcnt lgkmcnt(0)
	s_barrier
	s_and_saveexec_b64 s[4:5], s[2:3]
	s_cbranch_execz .LBB57_30
; %bb.29:
	ds_read_b64 v[5:6], v13 offset:11776
	s_waitcnt lgkmcnt(0)
	ds_write_b64 v14, v[5:6] offset:6136
.LBB57_30:
	s_or_b64 exec, exec, s[4:5]
	s_waitcnt lgkmcnt(0)
	s_barrier
	s_and_saveexec_b64 s[4:5], s[2:3]
	s_cbranch_execz .LBB57_36
; %bb.31:
	v_lshlrev_b32_e32 v5, 2, v0
	v_mov_b32_e32 v6, 0x2000
	v_cmp_ne_u32_e32 vcc, 0, v0
	v_lshl_or_b32 v8, v0, 5, v6
	v_lshlrev_b32_e32 v7, 3, v5
                                        ; implicit-def: $vgpr6
	s_and_saveexec_b64 s[2:3], vcc
	s_xor_b64 s[2:3], exec, s[2:3]
	s_cbranch_execz .LBB57_33
; %bb.32:
	v_add_u32_e32 v5, 8, v7
	ds_read2st64_b64 v[9:12], v5 offset1:4
	v_add_u32_e32 v5, 0x1000, v7
	ds_read2_b64 v[14:17], v5 offset0:1 offset1:255
	ds_read_b64 v[5:6], v8 offset:8
	ds_read_b64 v[18:19], v7 offset:6168
	s_waitcnt lgkmcnt(3)
	v_mul_f32_e32 v20, v12, v12
	v_fmac_f32_e32 v20, v11, v11
	v_div_scale_f32 v21, s[6:7], v20, v20, 1.0
	v_div_scale_f32 v22, vcc, 1.0, v20, 1.0
	s_waitcnt lgkmcnt(2)
	v_mul_f32_e64 v8, v17, -v10
	v_mul_f32_e32 v17, v17, v9
	v_fmac_f32_e32 v8, v9, v16
	v_fmac_f32_e32 v17, v10, v16
	s_waitcnt lgkmcnt(1)
	v_sub_f32_e32 v5, v5, v8
	v_sub_f32_e32 v6, v6, v17
	v_rcp_f32_e32 v23, v21
	v_fma_f32 v24, -v21, v23, 1.0
	v_fmac_f32_e32 v23, v24, v23
	v_mul_f32_e32 v24, v22, v23
	v_fma_f32 v25, -v21, v24, v22
	v_fmac_f32_e32 v24, v25, v23
	v_fma_f32 v21, -v21, v24, v22
	v_div_fmas_f32 v21, v21, v23, v24
	s_waitcnt lgkmcnt(0)
	v_mul_f32_e64 v22, v19, -v15
	v_mul_f32_e32 v19, v19, v14
	v_fmac_f32_e32 v22, v14, v18
	v_fmac_f32_e32 v19, v15, v18
	v_sub_f32_e32 v5, v5, v22
	v_sub_f32_e32 v6, v6, v19
	v_mul_f32_e32 v8, v12, v6
	v_mul_f32_e64 v9, v12, -v5
	v_fmac_f32_e32 v8, v5, v11
	v_fmac_f32_e32 v9, v6, v11
	v_div_fixup_f32 v6, v21, v20, 1.0
	v_mul_f32_e32 v5, v6, v8
	v_mul_f32_e32 v6, v6, v9
                                        ; implicit-def: $vgpr8
.LBB57_33:
	s_andn2_saveexec_b64 s[2:3], s[2:3]
	s_cbranch_execz .LBB57_35
; %bb.34:
	v_add_u32_e32 v5, 8, v7
	ds_read2st64_b64 v[9:12], v5 offset0:4 offset1:8
	s_waitcnt lgkmcnt(0)
	v_mul_f32_e32 v16, v10, v10
	v_fmac_f32_e32 v16, v9, v9
	v_div_scale_f32 v5, s[6:7], v16, v16, 1.0
	v_div_scale_f32 v6, vcc, 1.0, v16, 1.0
	v_rcp_f32_e32 v14, v5
	v_fma_f32 v15, -v5, v14, 1.0
	v_fmac_f32_e32 v14, v15, v14
	v_mul_f32_e32 v15, v6, v14
	v_fma_f32 v17, -v5, v15, v6
	v_fmac_f32_e32 v15, v17, v14
	v_fma_f32 v5, -v5, v15, v6
	v_div_fmas_f32 v17, v5, v14, v15
	ds_read_b64 v[5:6], v7 offset:6168
	ds_read_b64 v[14:15], v8 offset:8
	s_waitcnt lgkmcnt(1)
	v_mul_f32_e64 v8, v6, -v12
	v_mul_f32_e32 v6, v6, v11
	v_fmac_f32_e32 v8, v11, v5
	v_fmac_f32_e32 v6, v12, v5
	s_waitcnt lgkmcnt(0)
	v_sub_f32_e32 v5, v14, v8
	v_sub_f32_e32 v6, v15, v6
	v_mul_f32_e32 v8, v10, v6
	v_mul_f32_e64 v10, v10, -v5
	v_fmac_f32_e32 v8, v5, v9
	v_fmac_f32_e32 v10, v6, v9
	v_div_fixup_f32 v6, v17, v16, 1.0
	v_mul_f32_e32 v5, v6, v8
	v_mul_f32_e32 v6, v10, v6
.LBB57_35:
	s_or_b64 exec, exec, s[2:3]
	ds_write_b64 v7, v[5:6] offset:6152
.LBB57_36:
	s_or_b64 exec, exec, s[4:5]
	s_waitcnt lgkmcnt(0)
	s_barrier
	s_and_saveexec_b64 s[2:3], s[0:1]
	s_cbranch_execz .LBB57_42
; %bb.37:
	v_lshlrev_b32_e32 v5, 1, v0
	v_mov_b32_e32 v6, 0x2000
	v_cmp_ne_u32_e32 vcc, 0, v0
	v_lshl_or_b32 v7, v0, 4, v6
	v_lshlrev_b32_e32 v0, 3, v5
                                        ; implicit-def: $vgpr6
	s_and_saveexec_b64 s[0:1], vcc
	s_xor_b64 s[0:1], exec, s[0:1]
	s_cbranch_execz .LBB57_39
; %bb.38:
	ds_read2st64_b64 v[8:11], v0 offset1:4
	v_add_u32_e32 v5, 0x1000, v0
	ds_read2_b64 v[14:17], v5 offset1:255
	ds_read_b64 v[5:6], v7
	ds_read_b64 v[18:19], v0 offset:6152
	s_waitcnt lgkmcnt(3)
	v_mul_f32_e32 v12, v11, v11
	v_fmac_f32_e32 v12, v10, v10
	v_div_scale_f32 v20, s[4:5], v12, v12, 1.0
	v_div_scale_f32 v21, vcc, 1.0, v12, 1.0
	s_waitcnt lgkmcnt(2)
	v_mul_f32_e64 v7, v17, -v9
	v_mul_f32_e32 v17, v17, v8
	v_fmac_f32_e32 v7, v8, v16
	v_fmac_f32_e32 v17, v9, v16
	s_waitcnt lgkmcnt(1)
	v_sub_f32_e32 v5, v5, v7
	v_sub_f32_e32 v6, v6, v17
	v_rcp_f32_e32 v22, v20
	v_fma_f32 v23, -v20, v22, 1.0
	v_fmac_f32_e32 v22, v23, v22
	v_mul_f32_e32 v23, v21, v22
	v_fma_f32 v24, -v20, v23, v21
	v_fmac_f32_e32 v23, v24, v22
	v_fma_f32 v20, -v20, v23, v21
	v_div_fmas_f32 v20, v20, v22, v23
	s_waitcnt lgkmcnt(0)
	v_mul_f32_e64 v21, v19, -v15
	v_mul_f32_e32 v19, v19, v14
	v_fmac_f32_e32 v21, v14, v18
	v_fmac_f32_e32 v19, v15, v18
	v_sub_f32_e32 v5, v5, v21
	v_sub_f32_e32 v6, v6, v19
	v_mul_f32_e32 v7, v11, v6
	v_mul_f32_e64 v8, v11, -v5
	v_fmac_f32_e32 v7, v5, v10
	v_fmac_f32_e32 v8, v6, v10
	v_div_fixup_f32 v6, v20, v12, 1.0
	v_mul_f32_e32 v5, v6, v7
	v_mul_f32_e32 v6, v6, v8
                                        ; implicit-def: $vgpr7
.LBB57_39:
	s_andn2_saveexec_b64 s[0:1], s[0:1]
	s_cbranch_execz .LBB57_41
; %bb.40:
	ds_read2st64_b64 v[8:11], v0 offset0:4 offset1:8
	s_waitcnt lgkmcnt(0)
	v_mul_f32_e32 v12, v9, v9
	v_fmac_f32_e32 v12, v8, v8
	v_div_scale_f32 v5, s[4:5], v12, v12, 1.0
	v_div_scale_f32 v6, vcc, 1.0, v12, 1.0
	v_rcp_f32_e32 v14, v5
	v_fma_f32 v15, -v5, v14, 1.0
	v_fmac_f32_e32 v14, v15, v14
	v_mul_f32_e32 v15, v6, v14
	v_fma_f32 v16, -v5, v15, v6
	v_fmac_f32_e32 v15, v16, v14
	v_fma_f32 v5, -v5, v15, v6
	v_div_fmas_f32 v16, v5, v14, v15
	ds_read_b64 v[5:6], v0 offset:6152
	ds_read_b64 v[14:15], v7
	s_waitcnt lgkmcnt(1)
	v_mul_f32_e64 v7, v6, -v11
	v_mul_f32_e32 v6, v6, v10
	v_fmac_f32_e32 v7, v10, v5
	v_fmac_f32_e32 v6, v11, v5
	s_waitcnt lgkmcnt(0)
	v_sub_f32_e32 v5, v14, v7
	v_sub_f32_e32 v6, v15, v6
	v_mul_f32_e32 v7, v9, v6
	v_mul_f32_e64 v9, v9, -v5
	v_fmac_f32_e32 v7, v5, v8
	v_fmac_f32_e32 v9, v6, v8
	v_div_fixup_f32 v6, v16, v12, 1.0
	v_mul_f32_e32 v5, v6, v7
	v_mul_f32_e32 v6, v9, v6
.LBB57_41:
	s_or_b64 exec, exec, s[0:1]
	ds_write_b64 v0, v[5:6] offset:6144
.LBB57_42:
	s_or_b64 exec, exec, s[2:3]
	s_waitcnt lgkmcnt(0)
	s_barrier
	ds_read2st64_b64 v[5:8], v13 offset0:12 offset1:14
	s_waitcnt lgkmcnt(0)
	global_store_dwordx2 v[1:2], v[5:6], off
	global_store_dwordx2 v[3:4], v[7:8], off
	s_endpgm
	.section	.rodata,"a",@progbits
	.p2align	6, 0x0
	.amdhsa_kernel _ZN9rocsparseL37gtsv_nopivot_crpcr_pow2_shared_kernelILj128ELj64E21rocsparse_complex_numIfEEEviiiPKT1_S5_S5_PS3_
		.amdhsa_group_segment_fixed_size 12800
		.amdhsa_private_segment_fixed_size 0
		.amdhsa_kernarg_size 48
		.amdhsa_user_sgpr_count 6
		.amdhsa_user_sgpr_private_segment_buffer 1
		.amdhsa_user_sgpr_dispatch_ptr 0
		.amdhsa_user_sgpr_queue_ptr 0
		.amdhsa_user_sgpr_kernarg_segment_ptr 1
		.amdhsa_user_sgpr_dispatch_id 0
		.amdhsa_user_sgpr_flat_scratch_init 0
		.amdhsa_user_sgpr_private_segment_size 0
		.amdhsa_uses_dynamic_stack 0
		.amdhsa_system_sgpr_private_segment_wavefront_offset 0
		.amdhsa_system_sgpr_workgroup_id_x 1
		.amdhsa_system_sgpr_workgroup_id_y 0
		.amdhsa_system_sgpr_workgroup_id_z 0
		.amdhsa_system_sgpr_workgroup_info 0
		.amdhsa_system_vgpr_workitem_id 0
		.amdhsa_next_free_vgpr 65
		.amdhsa_next_free_sgpr 98
		.amdhsa_reserve_vcc 1
		.amdhsa_reserve_flat_scratch 0
		.amdhsa_float_round_mode_32 0
		.amdhsa_float_round_mode_16_64 0
		.amdhsa_float_denorm_mode_32 3
		.amdhsa_float_denorm_mode_16_64 3
		.amdhsa_dx10_clamp 1
		.amdhsa_ieee_mode 1
		.amdhsa_fp16_overflow 0
		.amdhsa_exception_fp_ieee_invalid_op 0
		.amdhsa_exception_fp_denorm_src 0
		.amdhsa_exception_fp_ieee_div_zero 0
		.amdhsa_exception_fp_ieee_overflow 0
		.amdhsa_exception_fp_ieee_underflow 0
		.amdhsa_exception_fp_ieee_inexact 0
		.amdhsa_exception_int_div_zero 0
	.end_amdhsa_kernel
	.section	.text._ZN9rocsparseL37gtsv_nopivot_crpcr_pow2_shared_kernelILj128ELj64E21rocsparse_complex_numIfEEEviiiPKT1_S5_S5_PS3_,"axG",@progbits,_ZN9rocsparseL37gtsv_nopivot_crpcr_pow2_shared_kernelILj128ELj64E21rocsparse_complex_numIfEEEviiiPKT1_S5_S5_PS3_,comdat
.Lfunc_end57:
	.size	_ZN9rocsparseL37gtsv_nopivot_crpcr_pow2_shared_kernelILj128ELj64E21rocsparse_complex_numIfEEEviiiPKT1_S5_S5_PS3_, .Lfunc_end57-_ZN9rocsparseL37gtsv_nopivot_crpcr_pow2_shared_kernelILj128ELj64E21rocsparse_complex_numIfEEEviiiPKT1_S5_S5_PS3_
                                        ; -- End function
	.set _ZN9rocsparseL37gtsv_nopivot_crpcr_pow2_shared_kernelILj128ELj64E21rocsparse_complex_numIfEEEviiiPKT1_S5_S5_PS3_.num_vgpr, 38
	.set _ZN9rocsparseL37gtsv_nopivot_crpcr_pow2_shared_kernelILj128ELj64E21rocsparse_complex_numIfEEEviiiPKT1_S5_S5_PS3_.num_agpr, 0
	.set _ZN9rocsparseL37gtsv_nopivot_crpcr_pow2_shared_kernelILj128ELj64E21rocsparse_complex_numIfEEEviiiPKT1_S5_S5_PS3_.numbered_sgpr, 16
	.set _ZN9rocsparseL37gtsv_nopivot_crpcr_pow2_shared_kernelILj128ELj64E21rocsparse_complex_numIfEEEviiiPKT1_S5_S5_PS3_.num_named_barrier, 0
	.set _ZN9rocsparseL37gtsv_nopivot_crpcr_pow2_shared_kernelILj128ELj64E21rocsparse_complex_numIfEEEviiiPKT1_S5_S5_PS3_.private_seg_size, 0
	.set _ZN9rocsparseL37gtsv_nopivot_crpcr_pow2_shared_kernelILj128ELj64E21rocsparse_complex_numIfEEEviiiPKT1_S5_S5_PS3_.uses_vcc, 1
	.set _ZN9rocsparseL37gtsv_nopivot_crpcr_pow2_shared_kernelILj128ELj64E21rocsparse_complex_numIfEEEviiiPKT1_S5_S5_PS3_.uses_flat_scratch, 0
	.set _ZN9rocsparseL37gtsv_nopivot_crpcr_pow2_shared_kernelILj128ELj64E21rocsparse_complex_numIfEEEviiiPKT1_S5_S5_PS3_.has_dyn_sized_stack, 0
	.set _ZN9rocsparseL37gtsv_nopivot_crpcr_pow2_shared_kernelILj128ELj64E21rocsparse_complex_numIfEEEviiiPKT1_S5_S5_PS3_.has_recursion, 0
	.set _ZN9rocsparseL37gtsv_nopivot_crpcr_pow2_shared_kernelILj128ELj64E21rocsparse_complex_numIfEEEviiiPKT1_S5_S5_PS3_.has_indirect_call, 0
	.section	.AMDGPU.csdata,"",@progbits
; Kernel info:
; codeLenInByte = 5688
; TotalNumSgprs: 20
; NumVgprs: 38
; ScratchSize: 0
; MemoryBound: 0
; FloatMode: 240
; IeeeMode: 1
; LDSByteSize: 12800 bytes/workgroup (compile time only)
; SGPRBlocks: 12
; VGPRBlocks: 16
; NumSGPRsForWavesPerEU: 102
; NumVGPRsForWavesPerEU: 65
; Occupancy: 3
; WaveLimiterHint : 1
; COMPUTE_PGM_RSRC2:SCRATCH_EN: 0
; COMPUTE_PGM_RSRC2:USER_SGPR: 6
; COMPUTE_PGM_RSRC2:TRAP_HANDLER: 0
; COMPUTE_PGM_RSRC2:TGID_X_EN: 1
; COMPUTE_PGM_RSRC2:TGID_Y_EN: 0
; COMPUTE_PGM_RSRC2:TGID_Z_EN: 0
; COMPUTE_PGM_RSRC2:TIDIG_COMP_CNT: 0
	.section	.text._ZN9rocsparseL37gtsv_nopivot_crpcr_pow2_shared_kernelILj256ELj64E21rocsparse_complex_numIfEEEviiiPKT1_S5_S5_PS3_,"axG",@progbits,_ZN9rocsparseL37gtsv_nopivot_crpcr_pow2_shared_kernelILj256ELj64E21rocsparse_complex_numIfEEEviiiPKT1_S5_S5_PS3_,comdat
	.globl	_ZN9rocsparseL37gtsv_nopivot_crpcr_pow2_shared_kernelILj256ELj64E21rocsparse_complex_numIfEEEviiiPKT1_S5_S5_PS3_ ; -- Begin function _ZN9rocsparseL37gtsv_nopivot_crpcr_pow2_shared_kernelILj256ELj64E21rocsparse_complex_numIfEEEviiiPKT1_S5_S5_PS3_
	.p2align	8
	.type	_ZN9rocsparseL37gtsv_nopivot_crpcr_pow2_shared_kernelILj256ELj64E21rocsparse_complex_numIfEEEviiiPKT1_S5_S5_PS3_,@function
_ZN9rocsparseL37gtsv_nopivot_crpcr_pow2_shared_kernelILj256ELj64E21rocsparse_complex_numIfEEEviiiPKT1_S5_S5_PS3_: ; @_ZN9rocsparseL37gtsv_nopivot_crpcr_pow2_shared_kernelILj256ELj64E21rocsparse_complex_numIfEEEviiiPKT1_S5_S5_PS3_
; %bb.0:
	s_load_dwordx8 s[8:15], s[4:5], 0x10
	s_load_dword s0, s[4:5], 0x8
	v_mov_b32_e32 v4, 0
	v_lshlrev_b32_e32 v13, 3, v0
	v_add_u32_e32 v6, 1, v0
	s_waitcnt lgkmcnt(0)
	v_mov_b32_e32 v5, s15
	s_mul_i32 s0, s0, s6
	v_add_u32_e32 v3, s0, v0
	v_lshlrev_b64 v[1:2], 3, v[3:4]
	v_add_u32_e32 v3, 0x100, v3
	v_add_co_u32_e32 v1, vcc, s14, v1
	v_lshlrev_b64 v[3:4], 3, v[3:4]
	v_addc_co_u32_e32 v2, vcc, v5, v2, vcc
	v_add_co_u32_e32 v3, vcc, s14, v3
	global_load_dwordx2 v[7:8], v13, s[8:9]
	global_load_dwordx2 v[9:10], v13, s[8:9] offset:2048
	global_load_dwordx2 v[11:12], v13, s[10:11]
	global_load_dwordx2 v[14:15], v13, s[12:13]
	global_load_dwordx2 v[16:17], v13, s[10:11] offset:2048
	global_load_dwordx2 v[18:19], v13, s[12:13] offset:2048
	v_addc_co_u32_e32 v4, vcc, v5, v4, vcc
	global_load_dwordx2 v[20:21], v[1:2], off
	global_load_dwordx2 v[22:23], v[3:4], off
	s_movk_i32 s0, 0x100
	v_cmp_gt_u32_e64 s[0:1], s0, v0
	s_waitcnt vmcnt(6)
	ds_write2st64_b64 v13, v[7:8], v[9:10] offset1:4
	s_waitcnt vmcnt(3)
	ds_write2st64_b64 v13, v[11:12], v[16:17] offset0:8 offset1:12
	s_waitcnt vmcnt(2)
	ds_write2st64_b64 v13, v[14:15], v[18:19] offset0:16 offset1:20
	;; [unrolled: 2-line block ×3, first 2 shown]
	s_waitcnt lgkmcnt(0)
	s_barrier
	s_and_saveexec_b64 s[4:5], s[0:1]
	s_cbranch_execz .LBB58_2
; %bb.1:
	v_lshlrev_b32_e32 v5, 4, v6
	v_lshlrev_b32_e32 v11, 1, v6
	v_add_u32_e32 v7, 0x800, v5
	v_min_u32_e32 v11, 0x1ff, v11
	ds_read2_b64 v[7:10], v7 offset0:254 offset1:255
	v_lshlrev_b32_e32 v28, 3, v11
	ds_read2st64_b64 v[14:17], v28 offset1:8
	v_add_u32_e32 v33, -8, v5
	v_add_u32_e32 v26, -16, v5
	s_waitcnt lgkmcnt(1)
	v_mul_f32_e32 v29, v8, v8
	v_fmac_f32_e32 v29, v7, v7
	s_waitcnt lgkmcnt(0)
	v_mul_f32_e32 v30, v17, v17
	v_div_scale_f32 v11, s[2:3], v29, v29, 1.0
	v_fmac_f32_e32 v30, v16, v16
	v_div_scale_f32 v12, s[2:3], v30, v30, 1.0
	v_div_scale_f32 v18, vcc, 1.0, v29, 1.0
	v_div_scale_f32 v19, s[2:3], 1.0, v30, 1.0
	v_rcp_f32_e32 v20, v11
	v_rcp_f32_e32 v21, v12
	v_fma_f32 v22, -v11, v20, 1.0
	v_fmac_f32_e32 v20, v22, v20
	v_mul_f32_e32 v23, v18, v20
	v_fma_f32 v22, -v12, v21, 1.0
	v_fmac_f32_e32 v21, v22, v21
	v_fma_f32 v22, -v11, v23, v18
	v_mul_f32_e32 v24, v19, v21
	v_fmac_f32_e32 v23, v22, v20
	v_fma_f32 v22, -v12, v24, v19
	v_fma_f32 v11, -v11, v23, v18
	v_fmac_f32_e32 v24, v22, v21
	v_div_fmas_f32 v31, v11, v20, v23
	v_fma_f32 v11, -v12, v24, v19
	s_mov_b64 vcc, s[2:3]
	v_div_fmas_f32 v32, v11, v21, v24
	ds_read_b64 v[11:12], v33
	ds_read_b128 v[18:21], v5 offset:8176
	ds_read_b128 v[22:25], v5 offset:16368
	ds_read_b64 v[26:27], v26
	s_waitcnt lgkmcnt(3)
	v_mul_f32_e32 v34, v8, v12
	v_mul_f32_e64 v8, v8, -v11
	v_fmac_f32_e32 v34, v11, v7
	v_fmac_f32_e32 v8, v12, v7
	s_waitcnt lgkmcnt(2)
	v_mul_f32_e32 v7, v17, v21
	v_fmac_f32_e32 v7, v20, v16
	v_div_fixup_f32 v11, v31, v29, 1.0
	v_mul_f32_e32 v31, v8, v11
	v_mul_f32_e32 v29, v11, v34
	v_div_fixup_f32 v8, v32, v30, 1.0
	v_mul_f32_e32 v30, v8, v7
	v_mul_f32_e64 v7, v17, -v20
	v_fmac_f32_e32 v7, v21, v16
	v_mul_f32_e32 v16, v7, v8
	v_mul_f32_e64 v7, v31, -v19
	v_mul_f32_e32 v8, v31, v18
	v_fmac_f32_e32 v7, v18, v29
	v_fmac_f32_e32 v8, v19, v29
	v_sub_f32_e32 v7, v9, v7
	v_sub_f32_e32 v8, v10, v8
	v_mul_f32_e64 v9, v16, -v15
	v_mul_f32_e32 v10, v16, v14
	v_fmac_f32_e32 v9, v14, v30
	v_fmac_f32_e32 v10, v15, v30
	v_sub_f32_e32 v11, v7, v9
	v_sub_f32_e32 v12, v8, v10
	ds_read2st64_b64 v[7:10], v28 offset0:16 offset1:32
	s_waitcnt lgkmcnt(2)
	v_mul_f32_e64 v14, v31, -v23
	v_mul_f32_e32 v15, v31, v22
	v_fmac_f32_e32 v14, v22, v29
	v_fmac_f32_e32 v15, v23, v29
	s_waitcnt lgkmcnt(0)
	v_mul_f32_e64 v17, v16, -v10
	v_mul_f32_e32 v18, v16, v9
	v_sub_f32_e32 v14, v24, v14
	v_sub_f32_e32 v15, v25, v15
	v_fmac_f32_e32 v17, v9, v30
	v_fmac_f32_e32 v18, v10, v30
	v_sub_f32_e32 v9, v14, v17
	v_sub_f32_e32 v10, v15, v18
	ds_write_b64 v5, v[9:10] offset:16376
	v_mul_f32_e32 v9, v31, v27
	v_mul_f32_e64 v10, v31, -v26
	v_fma_f32 v9, -v26, v29, v9
	v_fma_f32 v10, -v27, v29, v10
	ds_write_b64 v33, v[9:10]
	v_mul_f32_e32 v9, v16, v8
	v_fma_f32 v9, -v7, v30, v9
	v_mul_f32_e64 v7, v16, -v7
	v_fma_f32 v10, -v8, v30, v7
	v_add_u32_e32 v5, 0x1f8, v5
	ds_write2st64_b64 v5, v[11:12], v[9:10] offset0:7 offset1:15
.LBB58_2:
	s_or_b64 exec, exec, s[4:5]
	s_movk_i32 s2, 0x80
	v_cmp_gt_u32_e64 s[2:3], s2, v0
	s_waitcnt lgkmcnt(0)
	s_barrier
	s_and_saveexec_b64 s[6:7], s[2:3]
	s_cbranch_execz .LBB58_4
; %bb.3:
	v_lshlrev_b32_e32 v5, 5, v6
	v_lshl_or_b32 v11, v6, 2, 1
	v_add_u32_e32 v7, 0x800, v5
	v_min_u32_e32 v11, 0x1ff, v11
	ds_read2_b64 v[7:10], v7 offset0:253 offset1:255
	v_lshlrev_b32_e32 v24, 3, v11
	ds_read2st64_b64 v[14:17], v24 offset1:8
	v_add_u32_e32 v29, -8, v5
	s_waitcnt lgkmcnt(1)
	v_mul_f32_e32 v25, v8, v8
	v_fmac_f32_e32 v25, v7, v7
	s_waitcnt lgkmcnt(0)
	v_mul_f32_e32 v26, v17, v17
	v_div_scale_f32 v11, s[4:5], v25, v25, 1.0
	v_fmac_f32_e32 v26, v16, v16
	v_div_scale_f32 v12, s[4:5], v26, v26, 1.0
	v_div_scale_f32 v18, vcc, 1.0, v25, 1.0
	v_div_scale_f32 v19, s[4:5], 1.0, v26, 1.0
	v_rcp_f32_e32 v20, v11
	v_rcp_f32_e32 v21, v12
	v_fma_f32 v22, -v11, v20, 1.0
	v_fmac_f32_e32 v20, v22, v20
	v_mul_f32_e32 v23, v18, v20
	v_fma_f32 v22, -v12, v21, 1.0
	v_fmac_f32_e32 v21, v22, v21
	v_fma_f32 v22, -v11, v23, v18
	v_mul_f32_e32 v27, v19, v21
	v_fmac_f32_e32 v23, v22, v20
	v_fma_f32 v22, -v12, v27, v19
	v_fma_f32 v11, -v11, v23, v18
	v_fmac_f32_e32 v27, v22, v21
	v_div_fmas_f32 v28, v11, v20, v23
	v_fma_f32 v11, -v12, v27, v19
	s_mov_b64 vcc, s[4:5]
	v_div_fmas_f32 v27, v11, v21, v27
	ds_read_b64 v[11:12], v29
	v_subrev_u32_e32 v22, 24, v5
	v_add_u32_e32 v18, 0x1800, v5
	ds_read2_b64 v[18:21], v18 offset0:253 offset1:255
	ds_read_b64 v[22:23], v22
	s_waitcnt lgkmcnt(2)
	v_mul_f32_e32 v30, v8, v12
	v_mul_f32_e64 v8, v8, -v11
	v_fmac_f32_e32 v30, v11, v7
	v_fmac_f32_e32 v8, v12, v7
	s_waitcnt lgkmcnt(1)
	v_mul_f32_e32 v7, v17, v21
	v_fmac_f32_e32 v7, v20, v16
	v_div_fixup_f32 v11, v28, v25, 1.0
	v_mul_f32_e32 v28, v8, v11
	v_mul_f32_e32 v25, v11, v30
	v_div_fixup_f32 v8, v27, v26, 1.0
	v_mul_f32_e32 v26, v8, v7
	v_mul_f32_e64 v7, v17, -v20
	v_fmac_f32_e32 v7, v21, v16
	v_mul_f32_e32 v20, v7, v8
	v_mul_f32_e64 v7, v28, -v19
	v_fmac_f32_e32 v7, v18, v25
	v_mul_f32_e32 v8, v28, v18
	v_fmac_f32_e32 v8, v19, v25
	v_sub_f32_e32 v11, v9, v7
	v_add_u32_e32 v7, 0x3800, v5
	v_sub_f32_e32 v12, v10, v8
	v_mul_f32_e64 v16, v20, -v15
	ds_read2_b64 v[7:10], v7 offset0:253 offset1:255
	v_fmac_f32_e32 v16, v14, v26
	v_mul_f32_e32 v14, v20, v14
	v_fmac_f32_e32 v14, v15, v26
	v_sub_f32_e32 v11, v11, v16
	v_sub_f32_e32 v12, v12, v14
	ds_read2st64_b64 v[14:17], v24 offset0:16 offset1:32
	s_waitcnt lgkmcnt(1)
	v_mul_f32_e64 v18, v28, -v8
	v_fmac_f32_e32 v18, v7, v25
	v_mul_f32_e32 v7, v28, v7
	v_fmac_f32_e32 v7, v8, v25
	v_sub_f32_e32 v8, v9, v18
	v_sub_f32_e32 v9, v10, v7
	s_waitcnt lgkmcnt(0)
	v_mul_f32_e64 v7, v20, -v17
	v_mul_f32_e32 v10, v20, v16
	v_fmac_f32_e32 v7, v16, v26
	v_fmac_f32_e32 v10, v17, v26
	v_sub_f32_e32 v7, v8, v7
	v_sub_f32_e32 v8, v9, v10
	ds_write_b64 v5, v[7:8] offset:16376
	v_mul_f32_e32 v7, v28, v23
	v_mul_f32_e64 v8, v28, -v22
	v_fma_f32 v7, -v22, v25, v7
	v_fma_f32 v8, -v23, v25, v8
	ds_write_b64 v29, v[7:8]
	v_mul_f32_e32 v7, v20, v15
	v_mul_f32_e64 v8, v20, -v14
	v_fma_f32 v7, -v14, v26, v7
	v_fma_f32 v8, -v15, v26, v8
	v_add_u32_e32 v5, 0x1f8, v5
	ds_write2st64_b64 v5, v[11:12], v[7:8] offset0:7 offset1:15
.LBB58_4:
	s_or_b64 exec, exec, s[6:7]
	v_cmp_gt_u32_e64 s[4:5], 64, v0
	v_lshlrev_b32_e32 v14, 6, v6
	s_waitcnt lgkmcnt(0)
	s_barrier
	s_and_saveexec_b64 s[8:9], s[4:5]
	s_cbranch_execz .LBB58_6
; %bb.5:
	v_add_u32_e32 v5, 0x800, v14
	ds_read2_b64 v[7:10], v5 offset0:251 offset1:255
	v_lshl_or_b32 v5, v6, 3, 3
	v_min_u32_e32 v5, 0x1ff, v5
	v_lshlrev_b32_e32 v5, 3, v5
	ds_read2st64_b64 v[15:18], v5 offset1:8
	s_waitcnt lgkmcnt(1)
	v_mul_f32_e32 v25, v8, v8
	v_fmac_f32_e32 v25, v7, v7
	v_div_scale_f32 v11, s[6:7], v25, v25, 1.0
	s_waitcnt lgkmcnt(0)
	v_mul_f32_e32 v26, v18, v18
	v_fmac_f32_e32 v26, v17, v17
	v_div_scale_f32 v12, s[6:7], v26, v26, 1.0
	v_div_scale_f32 v19, vcc, 1.0, v25, 1.0
	v_div_scale_f32 v20, s[6:7], 1.0, v26, 1.0
	v_add_u32_e32 v27, -8, v14
	v_rcp_f32_e32 v21, v11
	v_rcp_f32_e32 v22, v12
	v_fma_f32 v23, -v11, v21, 1.0
	v_fmac_f32_e32 v21, v23, v21
	v_mul_f32_e32 v23, v19, v21
	v_fma_f32 v24, -v12, v22, 1.0
	v_fma_f32 v28, -v11, v23, v19
	v_fmac_f32_e32 v22, v24, v22
	v_fmac_f32_e32 v23, v28, v21
	v_mul_f32_e32 v24, v20, v22
	v_fma_f32 v11, -v11, v23, v19
	v_fma_f32 v19, -v12, v24, v20
	v_fmac_f32_e32 v24, v19, v22
	v_div_fmas_f32 v28, v11, v21, v23
	v_fma_f32 v11, -v12, v24, v20
	s_mov_b64 vcc, s[6:7]
	v_div_fmas_f32 v29, v11, v22, v24
	ds_read_b64 v[11:12], v27
	v_subrev_u32_e32 v23, 40, v14
	v_add_u32_e32 v19, 0x1800, v14
	ds_read2_b64 v[19:22], v19 offset0:251 offset1:255
	ds_read_b64 v[23:24], v23
	s_waitcnt lgkmcnt(2)
	v_mul_f32_e32 v30, v8, v12
	v_mul_f32_e64 v8, v8, -v11
	v_fmac_f32_e32 v30, v11, v7
	v_fmac_f32_e32 v8, v12, v7
	s_waitcnt lgkmcnt(1)
	v_mul_f32_e32 v7, v18, v22
	v_mul_f32_e64 v11, v18, -v21
	v_fmac_f32_e32 v7, v21, v17
	v_div_fixup_f32 v12, v28, v25, 1.0
	v_mul_f32_e32 v25, v8, v12
	v_mul_f32_e32 v21, v12, v30
	v_div_fixup_f32 v8, v29, v26, 1.0
	v_mul_f32_e32 v26, v8, v7
	v_fmac_f32_e32 v11, v22, v17
	v_mul_f32_e64 v7, v25, -v20
	v_mul_f32_e32 v22, v11, v8
	v_fmac_f32_e32 v7, v19, v21
	v_mul_f32_e32 v8, v25, v19
	v_fmac_f32_e32 v8, v20, v21
	v_sub_f32_e32 v11, v9, v7
	v_mul_f32_e64 v17, v22, -v16
	v_add_u32_e32 v7, 0x3800, v14
	v_sub_f32_e32 v12, v10, v8
	v_fmac_f32_e32 v17, v15, v26
	ds_read2_b64 v[7:10], v7 offset0:251 offset1:255
	v_mul_f32_e32 v15, v22, v15
	v_fmac_f32_e32 v15, v16, v26
	v_sub_f32_e32 v11, v11, v17
	v_sub_f32_e32 v12, v12, v15
	ds_read2st64_b64 v[15:18], v5 offset0:16 offset1:32
	s_waitcnt lgkmcnt(1)
	v_mul_f32_e64 v19, v25, -v8
	v_fmac_f32_e32 v19, v7, v21
	v_mul_f32_e32 v5, v25, v7
	v_fmac_f32_e32 v5, v8, v21
	v_sub_f32_e32 v7, v9, v19
	s_waitcnt lgkmcnt(0)
	v_mul_f32_e64 v8, v22, -v18
	v_mul_f32_e32 v9, v22, v17
	v_sub_f32_e32 v5, v10, v5
	v_fmac_f32_e32 v8, v17, v26
	v_fmac_f32_e32 v9, v18, v26
	v_sub_f32_e32 v7, v7, v8
	v_sub_f32_e32 v8, v5, v9
	v_mul_f32_e32 v5, v25, v24
	ds_write_b64 v14, v[7:8] offset:16376
	v_fma_f32 v7, -v23, v21, v5
	v_mul_f32_e64 v5, v25, -v23
	v_fma_f32 v8, -v24, v21, v5
	v_mul_f32_e32 v5, v22, v16
	ds_write_b64 v27, v[7:8]
	v_fma_f32 v7, -v15, v26, v5
	v_mul_f32_e64 v5, v22, -v15
	v_fma_f32 v8, -v16, v26, v5
	v_add_u32_e32 v5, 0x1f8, v14
	ds_write2st64_b64 v5, v[11:12], v[7:8] offset0:7 offset1:15
.LBB58_6:
	s_or_b64 exec, exec, s[8:9]
	s_waitcnt lgkmcnt(0)
	s_barrier
	s_and_saveexec_b64 s[6:7], s[4:5]
	s_cbranch_execz .LBB58_8
; %bb.7:
	v_add_u32_e32 v7, 0x1f8, v14
	v_add_u32_e32 v5, -8, v14
	ds_read2st64_b64 v[7:10], v7 offset0:7 offset1:15
	ds_read_b64 v[11:12], v5
	ds_read_b64 v[15:16], v14 offset:16376
	s_waitcnt lgkmcnt(1)
	ds_write2st64_b64 v13, v[11:12], v[7:8] offset0:40 offset1:41
	s_waitcnt lgkmcnt(1)
	ds_write2st64_b64 v13, v[9:10], v[15:16] offset0:42 offset1:44
.LBB58_8:
	s_or_b64 exec, exec, s[6:7]
	v_or_b32_e32 v16, 0x5000, v13
	v_add_u32_e32 v17, 0x5400, v13
	v_add_u32_e32 v18, 0x5200, v13
	v_or_b32_e32 v15, 0x5800, v13
	s_waitcnt lgkmcnt(0)
	s_barrier
                                        ; implicit-def: $vgpr7
                                        ; implicit-def: $vgpr11
                                        ; implicit-def: $vgpr5
                                        ; implicit-def: $vgpr9
	s_and_saveexec_b64 s[8:9], s[4:5]
	s_cbranch_execz .LBB58_10
; %bb.9:
	v_sub_u32_e64 v5, v0, 1 clamp
	v_lshlrev_b32_e32 v9, 3, v5
	v_min_u32_e32 v5, 63, v6
	ds_read2st64_b64 v[19:22], v9 offset0:40 offset1:41
	v_lshlrev_b32_e32 v31, 3, v5
	ds_read2st64_b64 v[5:8], v31 offset0:40 offset1:41
	s_waitcnt lgkmcnt(1)
	v_mul_f32_e32 v32, v22, v22
	v_fmac_f32_e32 v32, v21, v21
	s_waitcnt lgkmcnt(0)
	v_mul_f32_e32 v33, v8, v8
	v_div_scale_f32 v10, s[6:7], v32, v32, 1.0
	v_fmac_f32_e32 v33, v7, v7
	v_div_scale_f32 v11, s[6:7], v33, v33, 1.0
	v_div_scale_f32 v12, vcc, 1.0, v32, 1.0
	v_div_scale_f32 v23, s[6:7], 1.0, v33, 1.0
	v_rcp_f32_e32 v24, v10
	v_rcp_f32_e32 v25, v11
	v_fma_f32 v26, -v10, v24, 1.0
	v_fmac_f32_e32 v24, v26, v24
	v_mul_f32_e32 v26, v12, v24
	v_fma_f32 v27, -v11, v25, 1.0
	v_fmac_f32_e32 v25, v27, v25
	v_mul_f32_e32 v27, v23, v25
	v_fma_f32 v28, -v10, v26, v12
	v_fma_f32 v29, -v11, v27, v23
	v_fmac_f32_e32 v26, v28, v24
	v_fmac_f32_e32 v27, v29, v25
	v_fma_f32 v10, -v10, v26, v12
	v_fma_f32 v11, -v11, v27, v23
	v_div_fmas_f32 v34, v10, v24, v26
	s_mov_b64 vcc, s[6:7]
	v_div_fmas_f32 v35, v11, v25, v27
	ds_read_b64 v[23:24], v16
	ds_read_b64 v[25:26], v17
	;; [unrolled: 1-line block ×4, first 2 shown]
	ds_read2st64_b64 v[9:12], v9 offset0:42 offset1:44
	s_waitcnt lgkmcnt(4)
	v_mul_f32_e32 v36, v22, v24
	v_mul_f32_e64 v22, v22, -v23
	s_waitcnt lgkmcnt(3)
	v_mul_f32_e32 v37, v8, v26
	v_mul_f32_e64 v8, v8, -v25
	v_fmac_f32_e32 v36, v23, v21
	v_fmac_f32_e32 v22, v24, v21
	;; [unrolled: 1-line block ×4, first 2 shown]
	v_div_fixup_f32 v7, v34, v32, 1.0
	v_mul_f32_e32 v25, v7, v36
	v_mul_f32_e32 v26, v22, v7
	v_div_fixup_f32 v7, v35, v33, 1.0
	ds_read2st64_b64 v[21:24], v31 offset0:42 offset1:44
	v_mul_f32_e32 v32, v7, v37
	v_mul_f32_e32 v33, v8, v7
	s_waitcnt lgkmcnt(1)
	v_mul_f32_e64 v7, v26, -v10
	v_mul_f32_e32 v8, v26, v9
	v_fmac_f32_e32 v7, v9, v25
	v_fmac_f32_e32 v8, v10, v25
	v_mul_f32_e64 v9, v33, -v6
	v_mul_f32_e32 v10, v33, v5
	v_sub_f32_e32 v7, v27, v7
	v_sub_f32_e32 v8, v28, v8
	v_fmac_f32_e32 v9, v5, v32
	v_fmac_f32_e32 v10, v6, v32
	v_sub_f32_e32 v5, v7, v9
	v_sub_f32_e32 v6, v8, v10
	v_mul_f32_e64 v7, v26, -v12
	v_mul_f32_e32 v8, v26, v11
	v_fmac_f32_e32 v7, v11, v25
	v_fmac_f32_e32 v8, v12, v25
	s_waitcnt lgkmcnt(0)
	v_mul_f32_e64 v9, v33, -v24
	v_mul_f32_e32 v10, v33, v23
	v_sub_f32_e32 v7, v29, v7
	v_sub_f32_e32 v8, v30, v8
	v_fmac_f32_e32 v9, v23, v32
	v_fmac_f32_e32 v10, v24, v32
	v_sub_f32_e32 v7, v7, v9
	v_sub_f32_e32 v8, v8, v10
	v_mul_f32_e32 v9, v26, v20
	v_mul_f32_e64 v10, v26, -v19
	v_mul_f32_e32 v11, v33, v22
	v_mul_f32_e64 v12, v33, -v21
	v_fma_f32 v9, -v19, v25, v9
	v_fma_f32 v10, -v20, v25, v10
	;; [unrolled: 1-line block ×4, first 2 shown]
.LBB58_10:
	s_or_b64 exec, exec, s[8:9]
	s_barrier
	s_and_saveexec_b64 s[6:7], s[4:5]
	s_cbranch_execz .LBB58_12
; %bb.11:
	ds_write_b64 v18, v[5:6]
	ds_write_b64 v15, v[7:8]
	;; [unrolled: 1-line block ×4, first 2 shown]
.LBB58_12:
	s_or_b64 exec, exec, s[6:7]
	s_waitcnt lgkmcnt(0)
	s_barrier
	s_and_saveexec_b64 s[8:9], s[4:5]
	s_cbranch_execz .LBB58_14
; %bb.13:
	v_sub_u32_e64 v5, v0, 2 clamp
	v_lshlrev_b32_e32 v9, 3, v5
	v_min_u32_e32 v5, 61, v0
	v_lshlrev_b32_e32 v5, 3, v5
	ds_read2st64_b64 v[19:22], v9 offset0:40 offset1:41
	v_add_u32_e32 v31, 16, v5
	ds_read2st64_b64 v[5:8], v31 offset0:40 offset1:41
	s_waitcnt lgkmcnt(1)
	v_mul_f32_e32 v32, v22, v22
	v_fmac_f32_e32 v32, v21, v21
	s_waitcnt lgkmcnt(0)
	v_mul_f32_e32 v33, v8, v8
	v_div_scale_f32 v10, s[6:7], v32, v32, 1.0
	v_fmac_f32_e32 v33, v7, v7
	v_div_scale_f32 v11, s[6:7], v33, v33, 1.0
	v_div_scale_f32 v12, vcc, 1.0, v32, 1.0
	v_div_scale_f32 v23, s[6:7], 1.0, v33, 1.0
	v_rcp_f32_e32 v24, v10
	v_rcp_f32_e32 v25, v11
	v_fma_f32 v26, -v10, v24, 1.0
	v_fmac_f32_e32 v24, v26, v24
	v_mul_f32_e32 v27, v12, v24
	v_fma_f32 v26, -v11, v25, 1.0
	v_fmac_f32_e32 v25, v26, v25
	v_fma_f32 v26, -v10, v27, v12
	v_mul_f32_e32 v28, v23, v25
	v_fmac_f32_e32 v27, v26, v24
	v_fma_f32 v26, -v11, v28, v23
	v_fma_f32 v10, -v10, v27, v12
	v_fmac_f32_e32 v28, v26, v25
	v_div_fmas_f32 v34, v10, v24, v27
	v_fma_f32 v10, -v11, v28, v23
	s_mov_b64 vcc, s[6:7]
	v_div_fmas_f32 v35, v10, v25, v28
	ds_read_b64 v[23:24], v16
	ds_read_b64 v[25:26], v17
	ds_read_b64 v[27:28], v18
	ds_read_b64 v[29:30], v15
	ds_read2st64_b64 v[9:12], v9 offset0:42 offset1:44
	s_waitcnt lgkmcnt(4)
	v_mul_f32_e32 v36, v22, v24
	v_mul_f32_e64 v22, v22, -v23
	v_fmac_f32_e32 v36, v23, v21
	v_fmac_f32_e32 v22, v24, v21
	s_waitcnt lgkmcnt(3)
	v_mul_f32_e32 v21, v8, v26
	v_mul_f32_e64 v8, v8, -v25
	v_fmac_f32_e32 v21, v25, v7
	v_fmac_f32_e32 v8, v26, v7
	v_div_fixup_f32 v23, v34, v32, 1.0
	v_mul_f32_e32 v32, v22, v23
	v_mul_f32_e32 v25, v23, v36
	v_div_fixup_f32 v22, v35, v33, 1.0
	v_mul_f32_e32 v33, v22, v21
	v_mul_f32_e32 v26, v8, v22
	ds_read2st64_b64 v[21:24], v31 offset0:42 offset1:44
	s_waitcnt lgkmcnt(1)
	v_mul_f32_e64 v7, v32, -v10
	v_mul_f32_e32 v8, v32, v9
	v_fmac_f32_e32 v7, v9, v25
	v_fmac_f32_e32 v8, v10, v25
	v_mul_f32_e64 v9, v26, -v6
	v_mul_f32_e32 v10, v26, v5
	v_sub_f32_e32 v7, v27, v7
	v_sub_f32_e32 v8, v28, v8
	v_fmac_f32_e32 v9, v5, v33
	v_fmac_f32_e32 v10, v6, v33
	v_sub_f32_e32 v5, v7, v9
	v_sub_f32_e32 v6, v8, v10
	v_mul_f32_e64 v7, v32, -v12
	v_mul_f32_e32 v8, v32, v11
	v_fmac_f32_e32 v7, v11, v25
	v_fmac_f32_e32 v8, v12, v25
	s_waitcnt lgkmcnt(0)
	v_mul_f32_e64 v9, v26, -v24
	v_mul_f32_e32 v10, v26, v23
	v_sub_f32_e32 v7, v29, v7
	v_sub_f32_e32 v8, v30, v8
	v_fmac_f32_e32 v9, v23, v33
	v_fmac_f32_e32 v10, v24, v33
	v_sub_f32_e32 v7, v7, v9
	v_sub_f32_e32 v8, v8, v10
	v_mul_f32_e32 v9, v32, v20
	v_mul_f32_e64 v10, v32, -v19
	v_mul_f32_e32 v11, v26, v22
	v_mul_f32_e64 v12, v26, -v21
	v_fma_f32 v9, -v19, v25, v9
	v_fma_f32 v10, -v20, v25, v10
	;; [unrolled: 1-line block ×4, first 2 shown]
.LBB58_14:
	s_or_b64 exec, exec, s[8:9]
	s_barrier
	s_and_saveexec_b64 s[6:7], s[4:5]
	s_cbranch_execz .LBB58_16
; %bb.15:
	ds_write_b64 v18, v[5:6]
	ds_write_b64 v15, v[7:8]
	;; [unrolled: 1-line block ×4, first 2 shown]
.LBB58_16:
	s_or_b64 exec, exec, s[6:7]
	s_waitcnt lgkmcnt(0)
	s_barrier
	s_and_saveexec_b64 s[8:9], s[4:5]
	s_cbranch_execz .LBB58_18
; %bb.17:
	v_sub_u32_e64 v5, v0, 4 clamp
	v_lshlrev_b32_e32 v9, 3, v5
	v_min_u32_e32 v5, 59, v0
	v_lshlrev_b32_e32 v5, 3, v5
	ds_read2st64_b64 v[19:22], v9 offset0:40 offset1:41
	v_add_u32_e32 v31, 32, v5
	ds_read2st64_b64 v[5:8], v31 offset0:40 offset1:41
	s_waitcnt lgkmcnt(1)
	v_mul_f32_e32 v32, v22, v22
	v_fmac_f32_e32 v32, v21, v21
	s_waitcnt lgkmcnt(0)
	v_mul_f32_e32 v33, v8, v8
	v_div_scale_f32 v10, s[6:7], v32, v32, 1.0
	v_fmac_f32_e32 v33, v7, v7
	v_div_scale_f32 v11, s[6:7], v33, v33, 1.0
	v_div_scale_f32 v12, vcc, 1.0, v32, 1.0
	v_div_scale_f32 v23, s[6:7], 1.0, v33, 1.0
	v_rcp_f32_e32 v24, v10
	v_rcp_f32_e32 v25, v11
	v_fma_f32 v26, -v10, v24, 1.0
	v_fmac_f32_e32 v24, v26, v24
	v_mul_f32_e32 v27, v12, v24
	v_fma_f32 v26, -v11, v25, 1.0
	v_fmac_f32_e32 v25, v26, v25
	v_fma_f32 v26, -v10, v27, v12
	v_mul_f32_e32 v28, v23, v25
	v_fmac_f32_e32 v27, v26, v24
	v_fma_f32 v26, -v11, v28, v23
	v_fma_f32 v10, -v10, v27, v12
	v_fmac_f32_e32 v28, v26, v25
	v_div_fmas_f32 v34, v10, v24, v27
	v_fma_f32 v10, -v11, v28, v23
	s_mov_b64 vcc, s[6:7]
	v_div_fmas_f32 v35, v10, v25, v28
	ds_read_b64 v[23:24], v16
	ds_read_b64 v[25:26], v17
	;; [unrolled: 1-line block ×4, first 2 shown]
	ds_read2st64_b64 v[9:12], v9 offset0:42 offset1:44
	s_waitcnt lgkmcnt(4)
	v_mul_f32_e32 v36, v22, v24
	v_mul_f32_e64 v22, v22, -v23
	v_fmac_f32_e32 v36, v23, v21
	v_fmac_f32_e32 v22, v24, v21
	s_waitcnt lgkmcnt(3)
	v_mul_f32_e32 v21, v8, v26
	v_mul_f32_e64 v8, v8, -v25
	v_fmac_f32_e32 v21, v25, v7
	v_fmac_f32_e32 v8, v26, v7
	v_div_fixup_f32 v23, v34, v32, 1.0
	v_mul_f32_e32 v32, v22, v23
	v_mul_f32_e32 v25, v23, v36
	v_div_fixup_f32 v22, v35, v33, 1.0
	v_mul_f32_e32 v33, v22, v21
	v_mul_f32_e32 v26, v8, v22
	ds_read2st64_b64 v[21:24], v31 offset0:42 offset1:44
	s_waitcnt lgkmcnt(1)
	v_mul_f32_e64 v7, v32, -v10
	v_mul_f32_e32 v8, v32, v9
	v_fmac_f32_e32 v7, v9, v25
	v_fmac_f32_e32 v8, v10, v25
	v_mul_f32_e64 v9, v26, -v6
	v_mul_f32_e32 v10, v26, v5
	v_sub_f32_e32 v7, v27, v7
	v_sub_f32_e32 v8, v28, v8
	v_fmac_f32_e32 v9, v5, v33
	v_fmac_f32_e32 v10, v6, v33
	v_sub_f32_e32 v5, v7, v9
	v_sub_f32_e32 v6, v8, v10
	v_mul_f32_e64 v7, v32, -v12
	v_mul_f32_e32 v8, v32, v11
	v_fmac_f32_e32 v7, v11, v25
	v_fmac_f32_e32 v8, v12, v25
	s_waitcnt lgkmcnt(0)
	v_mul_f32_e64 v9, v26, -v24
	v_mul_f32_e32 v10, v26, v23
	v_sub_f32_e32 v7, v29, v7
	v_sub_f32_e32 v8, v30, v8
	v_fmac_f32_e32 v9, v23, v33
	v_fmac_f32_e32 v10, v24, v33
	v_sub_f32_e32 v7, v7, v9
	v_sub_f32_e32 v8, v8, v10
	v_mul_f32_e32 v9, v32, v20
	v_mul_f32_e64 v10, v32, -v19
	v_mul_f32_e32 v11, v26, v22
	v_mul_f32_e64 v12, v26, -v21
	v_fma_f32 v9, -v19, v25, v9
	v_fma_f32 v10, -v20, v25, v10
	;; [unrolled: 1-line block ×4, first 2 shown]
.LBB58_18:
	s_or_b64 exec, exec, s[8:9]
	s_barrier
	s_and_saveexec_b64 s[6:7], s[4:5]
	s_cbranch_execz .LBB58_20
; %bb.19:
	ds_write_b64 v18, v[5:6]
	ds_write_b64 v15, v[7:8]
	;; [unrolled: 1-line block ×4, first 2 shown]
.LBB58_20:
	s_or_b64 exec, exec, s[6:7]
	s_waitcnt lgkmcnt(0)
	s_barrier
	s_and_saveexec_b64 s[8:9], s[4:5]
	s_cbranch_execz .LBB58_22
; %bb.21:
	v_sub_u32_e64 v5, v0, 8 clamp
	v_lshlrev_b32_e32 v9, 3, v5
	v_min_u32_e32 v5, 55, v0
	v_lshlrev_b32_e32 v5, 3, v5
	ds_read2st64_b64 v[19:22], v9 offset0:40 offset1:41
	v_add_u32_e32 v31, 64, v5
	ds_read2st64_b64 v[5:8], v31 offset0:40 offset1:41
	s_waitcnt lgkmcnt(1)
	v_mul_f32_e32 v32, v22, v22
	v_fmac_f32_e32 v32, v21, v21
	s_waitcnt lgkmcnt(0)
	v_mul_f32_e32 v33, v8, v8
	v_div_scale_f32 v10, s[6:7], v32, v32, 1.0
	v_fmac_f32_e32 v33, v7, v7
	v_div_scale_f32 v11, s[6:7], v33, v33, 1.0
	v_div_scale_f32 v12, vcc, 1.0, v32, 1.0
	v_div_scale_f32 v23, s[6:7], 1.0, v33, 1.0
	v_rcp_f32_e32 v24, v10
	v_rcp_f32_e32 v25, v11
	v_fma_f32 v26, -v10, v24, 1.0
	v_fmac_f32_e32 v24, v26, v24
	v_mul_f32_e32 v27, v12, v24
	v_fma_f32 v26, -v11, v25, 1.0
	v_fmac_f32_e32 v25, v26, v25
	v_fma_f32 v26, -v10, v27, v12
	v_mul_f32_e32 v28, v23, v25
	v_fmac_f32_e32 v27, v26, v24
	v_fma_f32 v26, -v11, v28, v23
	v_fma_f32 v10, -v10, v27, v12
	v_fmac_f32_e32 v28, v26, v25
	v_div_fmas_f32 v34, v10, v24, v27
	v_fma_f32 v10, -v11, v28, v23
	s_mov_b64 vcc, s[6:7]
	v_div_fmas_f32 v35, v10, v25, v28
	ds_read_b64 v[23:24], v16
	ds_read_b64 v[25:26], v17
	;; [unrolled: 1-line block ×4, first 2 shown]
	ds_read2st64_b64 v[9:12], v9 offset0:42 offset1:44
	s_waitcnt lgkmcnt(4)
	v_mul_f32_e32 v36, v22, v24
	v_mul_f32_e64 v22, v22, -v23
	v_fmac_f32_e32 v36, v23, v21
	v_fmac_f32_e32 v22, v24, v21
	s_waitcnt lgkmcnt(3)
	v_mul_f32_e32 v21, v8, v26
	v_mul_f32_e64 v8, v8, -v25
	v_fmac_f32_e32 v21, v25, v7
	v_fmac_f32_e32 v8, v26, v7
	v_div_fixup_f32 v23, v34, v32, 1.0
	v_mul_f32_e32 v32, v22, v23
	v_mul_f32_e32 v25, v23, v36
	v_div_fixup_f32 v22, v35, v33, 1.0
	v_mul_f32_e32 v33, v22, v21
	v_mul_f32_e32 v26, v8, v22
	ds_read2st64_b64 v[21:24], v31 offset0:42 offset1:44
	s_waitcnt lgkmcnt(1)
	v_mul_f32_e64 v7, v32, -v10
	v_mul_f32_e32 v8, v32, v9
	v_fmac_f32_e32 v7, v9, v25
	v_fmac_f32_e32 v8, v10, v25
	v_mul_f32_e64 v9, v26, -v6
	v_mul_f32_e32 v10, v26, v5
	v_sub_f32_e32 v7, v27, v7
	v_sub_f32_e32 v8, v28, v8
	v_fmac_f32_e32 v9, v5, v33
	v_fmac_f32_e32 v10, v6, v33
	v_sub_f32_e32 v5, v7, v9
	v_sub_f32_e32 v6, v8, v10
	v_mul_f32_e64 v7, v32, -v12
	v_mul_f32_e32 v8, v32, v11
	v_fmac_f32_e32 v7, v11, v25
	v_fmac_f32_e32 v8, v12, v25
	s_waitcnt lgkmcnt(0)
	v_mul_f32_e64 v9, v26, -v24
	v_mul_f32_e32 v10, v26, v23
	v_sub_f32_e32 v7, v29, v7
	v_sub_f32_e32 v8, v30, v8
	v_fmac_f32_e32 v9, v23, v33
	v_fmac_f32_e32 v10, v24, v33
	v_sub_f32_e32 v7, v7, v9
	v_sub_f32_e32 v8, v8, v10
	v_mul_f32_e32 v9, v32, v20
	v_mul_f32_e64 v10, v32, -v19
	v_mul_f32_e32 v11, v26, v22
	v_mul_f32_e64 v12, v26, -v21
	v_fma_f32 v9, -v19, v25, v9
	v_fma_f32 v10, -v20, v25, v10
	v_fma_f32 v11, -v21, v33, v11
	v_fma_f32 v12, -v22, v33, v12
.LBB58_22:
	s_or_b64 exec, exec, s[8:9]
	s_barrier
	s_and_saveexec_b64 s[6:7], s[4:5]
	s_cbranch_execz .LBB58_24
; %bb.23:
	ds_write_b64 v18, v[5:6]
	ds_write_b64 v15, v[7:8]
	;; [unrolled: 1-line block ×4, first 2 shown]
.LBB58_24:
	s_or_b64 exec, exec, s[6:7]
	s_waitcnt lgkmcnt(0)
	s_barrier
	s_and_saveexec_b64 s[8:9], s[4:5]
	s_cbranch_execz .LBB58_26
; %bb.25:
	v_sub_u32_e64 v5, v0, 16 clamp
	v_lshlrev_b32_e32 v9, 3, v5
	v_min_u32_e32 v5, 47, v0
	v_lshlrev_b32_e32 v5, 3, v5
	ds_read2st64_b64 v[19:22], v9 offset0:40 offset1:41
	v_add_u32_e32 v31, 0x80, v5
	ds_read2st64_b64 v[5:8], v31 offset0:40 offset1:41
	s_waitcnt lgkmcnt(1)
	v_mul_f32_e32 v32, v22, v22
	v_fmac_f32_e32 v32, v21, v21
	s_waitcnt lgkmcnt(0)
	v_mul_f32_e32 v33, v8, v8
	v_div_scale_f32 v10, s[6:7], v32, v32, 1.0
	v_fmac_f32_e32 v33, v7, v7
	v_div_scale_f32 v11, s[6:7], v33, v33, 1.0
	v_div_scale_f32 v12, vcc, 1.0, v32, 1.0
	v_div_scale_f32 v23, s[6:7], 1.0, v33, 1.0
	v_rcp_f32_e32 v24, v10
	v_rcp_f32_e32 v25, v11
	v_fma_f32 v26, -v10, v24, 1.0
	v_fmac_f32_e32 v24, v26, v24
	v_mul_f32_e32 v27, v12, v24
	v_fma_f32 v26, -v11, v25, 1.0
	v_fmac_f32_e32 v25, v26, v25
	v_fma_f32 v26, -v10, v27, v12
	v_mul_f32_e32 v28, v23, v25
	v_fmac_f32_e32 v27, v26, v24
	v_fma_f32 v26, -v11, v28, v23
	v_fma_f32 v10, -v10, v27, v12
	v_fmac_f32_e32 v28, v26, v25
	v_div_fmas_f32 v34, v10, v24, v27
	v_fma_f32 v10, -v11, v28, v23
	s_mov_b64 vcc, s[6:7]
	v_div_fmas_f32 v35, v10, v25, v28
	ds_read_b64 v[23:24], v16
	ds_read_b64 v[25:26], v17
	;; [unrolled: 1-line block ×4, first 2 shown]
	ds_read2st64_b64 v[9:12], v9 offset0:42 offset1:44
	s_waitcnt lgkmcnt(4)
	v_mul_f32_e32 v36, v22, v24
	v_mul_f32_e64 v22, v22, -v23
	v_fmac_f32_e32 v36, v23, v21
	v_fmac_f32_e32 v22, v24, v21
	s_waitcnt lgkmcnt(3)
	v_mul_f32_e32 v21, v8, v26
	v_mul_f32_e64 v8, v8, -v25
	v_fmac_f32_e32 v21, v25, v7
	v_fmac_f32_e32 v8, v26, v7
	v_div_fixup_f32 v23, v34, v32, 1.0
	v_mul_f32_e32 v32, v22, v23
	v_mul_f32_e32 v25, v23, v36
	v_div_fixup_f32 v22, v35, v33, 1.0
	v_mul_f32_e32 v33, v22, v21
	v_mul_f32_e32 v26, v8, v22
	ds_read2st64_b64 v[21:24], v31 offset0:42 offset1:44
	s_waitcnt lgkmcnt(1)
	v_mul_f32_e64 v7, v32, -v10
	v_mul_f32_e32 v8, v32, v9
	v_fmac_f32_e32 v7, v9, v25
	v_fmac_f32_e32 v8, v10, v25
	v_mul_f32_e64 v9, v26, -v6
	v_mul_f32_e32 v10, v26, v5
	v_sub_f32_e32 v7, v27, v7
	v_sub_f32_e32 v8, v28, v8
	v_fmac_f32_e32 v9, v5, v33
	v_fmac_f32_e32 v10, v6, v33
	v_sub_f32_e32 v5, v7, v9
	v_sub_f32_e32 v6, v8, v10
	v_mul_f32_e64 v7, v32, -v12
	v_mul_f32_e32 v8, v32, v11
	v_fmac_f32_e32 v7, v11, v25
	v_fmac_f32_e32 v8, v12, v25
	s_waitcnt lgkmcnt(0)
	v_mul_f32_e64 v9, v26, -v24
	v_mul_f32_e32 v10, v26, v23
	v_sub_f32_e32 v7, v29, v7
	v_sub_f32_e32 v8, v30, v8
	v_fmac_f32_e32 v9, v23, v33
	v_fmac_f32_e32 v10, v24, v33
	v_sub_f32_e32 v7, v7, v9
	v_sub_f32_e32 v8, v8, v10
	v_mul_f32_e32 v9, v32, v20
	v_mul_f32_e64 v10, v32, -v19
	v_mul_f32_e32 v11, v26, v22
	v_mul_f32_e64 v12, v26, -v21
	v_fma_f32 v9, -v19, v25, v9
	v_fma_f32 v10, -v20, v25, v10
	;; [unrolled: 1-line block ×4, first 2 shown]
.LBB58_26:
	s_or_b64 exec, exec, s[8:9]
	s_barrier
	s_and_saveexec_b64 s[6:7], s[4:5]
	s_cbranch_execz .LBB58_28
; %bb.27:
	ds_write_b64 v18, v[5:6]
	ds_write_b64 v15, v[7:8]
	;; [unrolled: 1-line block ×4, first 2 shown]
.LBB58_28:
	s_or_b64 exec, exec, s[6:7]
	v_cmp_gt_u32_e32 vcc, 32, v0
	s_waitcnt lgkmcnt(0)
	s_barrier
	s_and_saveexec_b64 s[6:7], vcc
	s_cbranch_execz .LBB58_30
; %bb.29:
	ds_read2_b64 v[5:8], v18 offset1:32
	ds_read_b64 v[17:18], v17
	ds_read_b64 v[19:20], v16 offset:256
	s_waitcnt lgkmcnt(2)
	v_mul_f32_e32 v10, v6, v7
	v_mul_f32_e64 v9, v6, -v8
	s_waitcnt lgkmcnt(0)
	v_mul_f32_e32 v12, v20, v17
	v_fmac_f32_e32 v10, v8, v5
	v_mul_f32_e64 v11, v20, -v18
	v_fmac_f32_e32 v12, v18, v19
	v_fmac_f32_e32 v9, v7, v5
	;; [unrolled: 1-line block ×3, first 2 shown]
	v_sub_f32_e32 v21, v10, v12
	v_sub_f32_e32 v16, v9, v11
	v_mul_f32_e32 v22, v21, v21
	v_fmac_f32_e32 v22, v16, v16
	v_div_scale_f32 v23, s[8:9], v22, v22, 1.0
	v_div_scale_f32 v24, vcc, 1.0, v22, 1.0
	ds_read2_b64 v[9:12], v15 offset1:32
	s_waitcnt lgkmcnt(0)
	v_mul_f32_e64 v15, v10, -v8
	v_mul_f32_e32 v25, v10, v7
	v_mul_f32_e64 v27, v12, -v18
	v_mul_f32_e32 v28, v12, v17
	v_mul_f32_e64 v29, v6, -v12
	v_fmac_f32_e32 v15, v7, v9
	v_fmac_f32_e32 v25, v8, v9
	v_rcp_f32_e32 v26, v23
	v_fmac_f32_e32 v27, v17, v11
	v_fmac_f32_e32 v28, v18, v11
	;; [unrolled: 1-line block ×3, first 2 shown]
	v_fma_f32 v30, -v23, v26, 1.0
	v_fmac_f32_e32 v26, v30, v26
	v_mul_f32_e32 v30, v24, v26
	v_fma_f32 v31, -v23, v30, v24
	v_fmac_f32_e32 v30, v31, v26
	v_fma_f32 v23, -v23, v30, v24
	v_div_fmas_f32 v23, v23, v26, v30
	v_mul_f32_e32 v24, v6, v11
	v_mul_f32_e64 v26, v20, -v10
	v_mul_f32_e32 v20, v20, v9
	v_fmac_f32_e32 v24, v12, v5
	v_fmac_f32_e32 v26, v9, v19
	v_fma_f32 v5, 0, v21, v16
	v_fma_f32 v6, v16, 0, -v21
	v_fmac_f32_e32 v20, v10, v19
	v_sub_f32_e32 v7, v15, v27
	v_sub_f32_e32 v8, v25, v28
	;; [unrolled: 1-line block ×3, first 2 shown]
	v_div_fixup_f32 v9, v23, v22, 1.0
	v_mul_f32_e32 v10, v5, v9
	v_mul_f32_e32 v9, v6, v9
	v_mul_f32_e64 v5, v9, -v8
	v_mul_f32_e32 v6, v9, v7
	v_fmac_f32_e32 v5, v7, v10
	v_fmac_f32_e32 v6, v8, v10
	v_sub_f32_e32 v8, v29, v26
	v_mul_f32_e64 v7, v9, -v11
	v_fmac_f32_e32 v7, v8, v10
	v_mul_f32_e32 v8, v9, v8
	v_fmac_f32_e32 v8, v11, v10
	v_add_u32_e32 v9, 0x5000, v13
	ds_write2_b64 v9, v[5:6], v[7:8] offset0:192 offset1:224
.LBB58_30:
	s_or_b64 exec, exec, s[6:7]
	s_waitcnt lgkmcnt(0)
	s_barrier
	s_and_saveexec_b64 s[6:7], s[4:5]
	s_cbranch_execz .LBB58_32
; %bb.31:
	ds_read_b64 v[5:6], v13 offset:22016
	s_waitcnt lgkmcnt(0)
	ds_write_b64 v14, v[5:6] offset:12280
.LBB58_32:
	s_or_b64 exec, exec, s[6:7]
	s_waitcnt lgkmcnt(0)
	s_barrier
	s_and_saveexec_b64 s[6:7], s[4:5]
	s_cbranch_execz .LBB58_38
; %bb.33:
	v_mov_b32_e32 v5, 0x4000
	v_cmp_ne_u32_e32 vcc, 0, v0
	v_lshl_or_b32 v8, v0, 6, v5
	v_lshlrev_b32_e32 v7, 3, v13
                                        ; implicit-def: $vgpr6
	s_and_saveexec_b64 s[4:5], vcc
	s_xor_b64 s[4:5], exec, s[4:5]
	s_cbranch_execz .LBB58_35
; %bb.34:
	v_add_u32_e32 v5, 24, v7
	ds_read2st64_b64 v[9:12], v5 offset1:8
	v_add_u32_e32 v5, 0x2c00, v7
	ds_read2_b64 v[14:17], v5 offset0:127 offset1:135
	ds_read_b64 v[5:6], v8 offset:24
	ds_read_b64 v[18:19], v7 offset:8216
	s_waitcnt lgkmcnt(3)
	v_mul_f32_e32 v20, v12, v12
	v_fmac_f32_e32 v20, v11, v11
	v_div_scale_f32 v21, s[8:9], v20, v20, 1.0
	v_div_scale_f32 v22, vcc, 1.0, v20, 1.0
	s_waitcnt lgkmcnt(2)
	v_mul_f32_e64 v8, v15, -v10
	v_mul_f32_e32 v15, v15, v9
	v_fmac_f32_e32 v8, v9, v14
	v_fmac_f32_e32 v15, v10, v14
	s_waitcnt lgkmcnt(1)
	v_sub_f32_e32 v5, v5, v8
	v_sub_f32_e32 v6, v6, v15
	v_rcp_f32_e32 v23, v21
	v_fma_f32 v24, -v21, v23, 1.0
	v_fmac_f32_e32 v23, v24, v23
	v_mul_f32_e32 v24, v22, v23
	v_fma_f32 v25, -v21, v24, v22
	v_fmac_f32_e32 v24, v25, v23
	v_fma_f32 v21, -v21, v24, v22
	v_div_fmas_f32 v21, v21, v23, v24
	s_waitcnt lgkmcnt(0)
	v_mul_f32_e64 v22, v17, -v19
	v_mul_f32_e32 v17, v17, v18
	v_fmac_f32_e32 v22, v18, v16
	v_fmac_f32_e32 v17, v19, v16
	v_sub_f32_e32 v5, v5, v22
	v_sub_f32_e32 v6, v6, v17
	v_mul_f32_e32 v8, v12, v6
	v_mul_f32_e64 v9, v12, -v5
	v_fmac_f32_e32 v8, v5, v11
	v_fmac_f32_e32 v9, v6, v11
	v_div_fixup_f32 v6, v21, v20, 1.0
	v_mul_f32_e32 v5, v6, v8
	v_mul_f32_e32 v6, v6, v9
                                        ; implicit-def: $vgpr8
.LBB58_35:
	s_andn2_saveexec_b64 s[4:5], s[4:5]
	s_cbranch_execz .LBB58_37
; %bb.36:
	v_add_u32_e32 v5, 24, v7
	ds_read2st64_b64 v[9:12], v5 offset0:8 offset1:16
	s_waitcnt lgkmcnt(0)
	v_mul_f32_e32 v16, v10, v10
	v_fmac_f32_e32 v16, v9, v9
	v_div_scale_f32 v5, s[8:9], v16, v16, 1.0
	v_div_scale_f32 v6, vcc, 1.0, v16, 1.0
	v_rcp_f32_e32 v14, v5
	v_fma_f32 v15, -v5, v14, 1.0
	v_fmac_f32_e32 v14, v15, v14
	v_mul_f32_e32 v15, v6, v14
	v_fma_f32 v17, -v5, v15, v6
	v_fmac_f32_e32 v15, v17, v14
	v_fma_f32 v5, -v5, v15, v6
	v_div_fmas_f32 v17, v5, v14, v15
	ds_read_b64 v[5:6], v7 offset:12344
	ds_read_b64 v[14:15], v8 offset:24
	s_waitcnt lgkmcnt(1)
	v_mul_f32_e64 v8, v6, -v12
	v_mul_f32_e32 v6, v6, v11
	v_fmac_f32_e32 v8, v11, v5
	v_fmac_f32_e32 v6, v12, v5
	s_waitcnt lgkmcnt(0)
	v_sub_f32_e32 v5, v14, v8
	v_sub_f32_e32 v6, v15, v6
	v_mul_f32_e32 v8, v10, v6
	v_mul_f32_e64 v10, v10, -v5
	v_fmac_f32_e32 v8, v5, v9
	v_fmac_f32_e32 v10, v6, v9
	v_div_fixup_f32 v6, v17, v16, 1.0
	v_mul_f32_e32 v5, v6, v8
	v_mul_f32_e32 v6, v10, v6
.LBB58_37:
	s_or_b64 exec, exec, s[4:5]
	ds_write_b64 v7, v[5:6] offset:12312
.LBB58_38:
	s_or_b64 exec, exec, s[6:7]
	s_waitcnt lgkmcnt(0)
	s_barrier
	s_and_saveexec_b64 s[4:5], s[2:3]
	s_cbranch_execz .LBB58_44
; %bb.39:
	v_lshlrev_b32_e32 v5, 2, v0
	v_mov_b32_e32 v6, 0x4000
	v_cmp_ne_u32_e32 vcc, 0, v0
	v_lshl_or_b32 v8, v0, 5, v6
	v_lshlrev_b32_e32 v7, 3, v5
                                        ; implicit-def: $vgpr6
	s_and_saveexec_b64 s[2:3], vcc
	s_xor_b64 s[2:3], exec, s[2:3]
	s_cbranch_execz .LBB58_41
; %bb.40:
	v_add_u32_e32 v5, 8, v7
	ds_read2st64_b64 v[9:12], v5 offset1:8
	v_add_u32_e32 v5, 0x2c00, v7
	ds_read2_b64 v[14:17], v5 offset0:127 offset1:131
	ds_read_b64 v[5:6], v8 offset:8
	ds_read_b64 v[18:19], v7 offset:8200
	s_waitcnt lgkmcnt(3)
	v_mul_f32_e32 v20, v12, v12
	v_fmac_f32_e32 v20, v11, v11
	v_div_scale_f32 v21, s[6:7], v20, v20, 1.0
	v_div_scale_f32 v22, vcc, 1.0, v20, 1.0
	s_waitcnt lgkmcnt(2)
	v_mul_f32_e64 v8, v15, -v10
	v_mul_f32_e32 v15, v15, v9
	v_fmac_f32_e32 v8, v9, v14
	v_fmac_f32_e32 v15, v10, v14
	s_waitcnt lgkmcnt(1)
	v_sub_f32_e32 v5, v5, v8
	v_sub_f32_e32 v6, v6, v15
	v_rcp_f32_e32 v23, v21
	v_fma_f32 v24, -v21, v23, 1.0
	v_fmac_f32_e32 v23, v24, v23
	v_mul_f32_e32 v24, v22, v23
	v_fma_f32 v25, -v21, v24, v22
	v_fmac_f32_e32 v24, v25, v23
	v_fma_f32 v21, -v21, v24, v22
	v_div_fmas_f32 v21, v21, v23, v24
	s_waitcnt lgkmcnt(0)
	v_mul_f32_e64 v22, v17, -v19
	v_mul_f32_e32 v17, v17, v18
	v_fmac_f32_e32 v22, v18, v16
	v_fmac_f32_e32 v17, v19, v16
	v_sub_f32_e32 v5, v5, v22
	v_sub_f32_e32 v6, v6, v17
	v_mul_f32_e32 v8, v12, v6
	v_mul_f32_e64 v9, v12, -v5
	v_fmac_f32_e32 v8, v5, v11
	v_fmac_f32_e32 v9, v6, v11
	v_div_fixup_f32 v6, v21, v20, 1.0
	v_mul_f32_e32 v5, v6, v8
	v_mul_f32_e32 v6, v6, v9
                                        ; implicit-def: $vgpr8
.LBB58_41:
	s_andn2_saveexec_b64 s[2:3], s[2:3]
	s_cbranch_execz .LBB58_43
; %bb.42:
	v_add_u32_e32 v5, 8, v7
	ds_read2st64_b64 v[9:12], v5 offset0:8 offset1:16
	s_waitcnt lgkmcnt(0)
	v_mul_f32_e32 v16, v10, v10
	v_fmac_f32_e32 v16, v9, v9
	v_div_scale_f32 v5, s[6:7], v16, v16, 1.0
	v_div_scale_f32 v6, vcc, 1.0, v16, 1.0
	v_rcp_f32_e32 v14, v5
	v_fma_f32 v15, -v5, v14, 1.0
	v_fmac_f32_e32 v14, v15, v14
	v_mul_f32_e32 v15, v6, v14
	v_fma_f32 v17, -v5, v15, v6
	v_fmac_f32_e32 v15, v17, v14
	v_fma_f32 v5, -v5, v15, v6
	v_div_fmas_f32 v17, v5, v14, v15
	ds_read_b64 v[5:6], v7 offset:12312
	ds_read_b64 v[14:15], v8 offset:8
	s_waitcnt lgkmcnt(1)
	v_mul_f32_e64 v8, v6, -v12
	v_mul_f32_e32 v6, v6, v11
	v_fmac_f32_e32 v8, v11, v5
	v_fmac_f32_e32 v6, v12, v5
	s_waitcnt lgkmcnt(0)
	v_sub_f32_e32 v5, v14, v8
	v_sub_f32_e32 v6, v15, v6
	v_mul_f32_e32 v8, v10, v6
	v_mul_f32_e64 v10, v10, -v5
	v_fmac_f32_e32 v8, v5, v9
	v_fmac_f32_e32 v10, v6, v9
	v_div_fixup_f32 v6, v17, v16, 1.0
	v_mul_f32_e32 v5, v6, v8
	v_mul_f32_e32 v6, v10, v6
.LBB58_43:
	s_or_b64 exec, exec, s[2:3]
	ds_write_b64 v7, v[5:6] offset:12296
.LBB58_44:
	s_or_b64 exec, exec, s[4:5]
	s_waitcnt lgkmcnt(0)
	s_barrier
	s_and_saveexec_b64 s[2:3], s[0:1]
	s_cbranch_execz .LBB58_50
; %bb.45:
	v_lshlrev_b32_e32 v5, 1, v0
	v_mov_b32_e32 v6, 0x4000
	v_cmp_ne_u32_e32 vcc, 0, v0
	v_lshl_or_b32 v7, v0, 4, v6
	v_lshlrev_b32_e32 v0, 3, v5
                                        ; implicit-def: $vgpr6
	s_and_saveexec_b64 s[0:1], vcc
	s_xor_b64 s[0:1], exec, s[0:1]
	s_cbranch_execz .LBB58_47
; %bb.46:
	ds_read2st64_b64 v[8:11], v0 offset1:8
	v_add_u32_e32 v5, 0x2c00, v0
	ds_read2_b64 v[14:17], v5 offset0:127 offset1:129
	ds_read_b64 v[5:6], v7
	ds_read_b64 v[18:19], v0 offset:8192
	s_waitcnt lgkmcnt(3)
	v_mul_f32_e32 v12, v11, v11
	v_fmac_f32_e32 v12, v10, v10
	v_div_scale_f32 v20, s[4:5], v12, v12, 1.0
	v_div_scale_f32 v21, vcc, 1.0, v12, 1.0
	s_waitcnt lgkmcnt(2)
	v_mul_f32_e64 v7, v15, -v9
	v_mul_f32_e32 v15, v15, v8
	v_fmac_f32_e32 v7, v8, v14
	v_fmac_f32_e32 v15, v9, v14
	s_waitcnt lgkmcnt(1)
	v_sub_f32_e32 v5, v5, v7
	v_sub_f32_e32 v6, v6, v15
	v_rcp_f32_e32 v22, v20
	v_fma_f32 v23, -v20, v22, 1.0
	v_fmac_f32_e32 v22, v23, v22
	v_mul_f32_e32 v23, v21, v22
	v_fma_f32 v24, -v20, v23, v21
	v_fmac_f32_e32 v23, v24, v22
	v_fma_f32 v20, -v20, v23, v21
	v_div_fmas_f32 v20, v20, v22, v23
	s_waitcnt lgkmcnt(0)
	v_mul_f32_e64 v21, v17, -v19
	v_mul_f32_e32 v17, v17, v18
	v_fmac_f32_e32 v21, v18, v16
	v_fmac_f32_e32 v17, v19, v16
	v_sub_f32_e32 v5, v5, v21
	v_sub_f32_e32 v6, v6, v17
	v_mul_f32_e32 v7, v11, v6
	v_mul_f32_e64 v8, v11, -v5
	v_fmac_f32_e32 v7, v5, v10
	v_fmac_f32_e32 v8, v6, v10
	v_div_fixup_f32 v6, v20, v12, 1.0
	v_mul_f32_e32 v5, v6, v7
	v_mul_f32_e32 v6, v6, v8
                                        ; implicit-def: $vgpr7
.LBB58_47:
	s_andn2_saveexec_b64 s[0:1], s[0:1]
	s_cbranch_execz .LBB58_49
; %bb.48:
	ds_read2st64_b64 v[8:11], v0 offset0:8 offset1:16
	s_waitcnt lgkmcnt(0)
	v_mul_f32_e32 v12, v9, v9
	v_fmac_f32_e32 v12, v8, v8
	v_div_scale_f32 v5, s[4:5], v12, v12, 1.0
	v_div_scale_f32 v6, vcc, 1.0, v12, 1.0
	v_rcp_f32_e32 v14, v5
	v_fma_f32 v15, -v5, v14, 1.0
	v_fmac_f32_e32 v14, v15, v14
	v_mul_f32_e32 v15, v6, v14
	v_fma_f32 v16, -v5, v15, v6
	v_fmac_f32_e32 v15, v16, v14
	v_fma_f32 v5, -v5, v15, v6
	v_div_fmas_f32 v16, v5, v14, v15
	ds_read_b64 v[5:6], v0 offset:12296
	ds_read_b64 v[14:15], v7
	s_waitcnt lgkmcnt(1)
	v_mul_f32_e64 v7, v6, -v11
	v_mul_f32_e32 v6, v6, v10
	v_fmac_f32_e32 v7, v10, v5
	v_fmac_f32_e32 v6, v11, v5
	s_waitcnt lgkmcnt(0)
	v_sub_f32_e32 v5, v14, v7
	v_sub_f32_e32 v6, v15, v6
	v_mul_f32_e32 v7, v9, v6
	v_mul_f32_e64 v9, v9, -v5
	v_fmac_f32_e32 v7, v5, v8
	v_fmac_f32_e32 v9, v6, v8
	v_div_fixup_f32 v6, v16, v12, 1.0
	v_mul_f32_e32 v5, v6, v7
	v_mul_f32_e32 v6, v9, v6
.LBB58_49:
	s_or_b64 exec, exec, s[0:1]
	ds_write_b64 v0, v[5:6] offset:12288
.LBB58_50:
	s_or_b64 exec, exec, s[2:3]
	s_waitcnt lgkmcnt(0)
	s_barrier
	ds_read2st64_b64 v[5:8], v13 offset0:24 offset1:28
	s_waitcnt lgkmcnt(0)
	global_store_dwordx2 v[1:2], v[5:6], off
	global_store_dwordx2 v[3:4], v[7:8], off
	s_endpgm
	.section	.rodata,"a",@progbits
	.p2align	6, 0x0
	.amdhsa_kernel _ZN9rocsparseL37gtsv_nopivot_crpcr_pow2_shared_kernelILj256ELj64E21rocsparse_complex_numIfEEEviiiPKT1_S5_S5_PS3_
		.amdhsa_group_segment_fixed_size 23040
		.amdhsa_private_segment_fixed_size 0
		.amdhsa_kernarg_size 48
		.amdhsa_user_sgpr_count 6
		.amdhsa_user_sgpr_private_segment_buffer 1
		.amdhsa_user_sgpr_dispatch_ptr 0
		.amdhsa_user_sgpr_queue_ptr 0
		.amdhsa_user_sgpr_kernarg_segment_ptr 1
		.amdhsa_user_sgpr_dispatch_id 0
		.amdhsa_user_sgpr_flat_scratch_init 0
		.amdhsa_user_sgpr_private_segment_size 0
		.amdhsa_uses_dynamic_stack 0
		.amdhsa_system_sgpr_private_segment_wavefront_offset 0
		.amdhsa_system_sgpr_workgroup_id_x 1
		.amdhsa_system_sgpr_workgroup_id_y 0
		.amdhsa_system_sgpr_workgroup_id_z 0
		.amdhsa_system_sgpr_workgroup_info 0
		.amdhsa_system_vgpr_workitem_id 0
		.amdhsa_next_free_vgpr 85
		.amdhsa_next_free_sgpr 98
		.amdhsa_reserve_vcc 1
		.amdhsa_reserve_flat_scratch 0
		.amdhsa_float_round_mode_32 0
		.amdhsa_float_round_mode_16_64 0
		.amdhsa_float_denorm_mode_32 3
		.amdhsa_float_denorm_mode_16_64 3
		.amdhsa_dx10_clamp 1
		.amdhsa_ieee_mode 1
		.amdhsa_fp16_overflow 0
		.amdhsa_exception_fp_ieee_invalid_op 0
		.amdhsa_exception_fp_denorm_src 0
		.amdhsa_exception_fp_ieee_div_zero 0
		.amdhsa_exception_fp_ieee_overflow 0
		.amdhsa_exception_fp_ieee_underflow 0
		.amdhsa_exception_fp_ieee_inexact 0
		.amdhsa_exception_int_div_zero 0
	.end_amdhsa_kernel
	.section	.text._ZN9rocsparseL37gtsv_nopivot_crpcr_pow2_shared_kernelILj256ELj64E21rocsparse_complex_numIfEEEviiiPKT1_S5_S5_PS3_,"axG",@progbits,_ZN9rocsparseL37gtsv_nopivot_crpcr_pow2_shared_kernelILj256ELj64E21rocsparse_complex_numIfEEEviiiPKT1_S5_S5_PS3_,comdat
.Lfunc_end58:
	.size	_ZN9rocsparseL37gtsv_nopivot_crpcr_pow2_shared_kernelILj256ELj64E21rocsparse_complex_numIfEEEviiiPKT1_S5_S5_PS3_, .Lfunc_end58-_ZN9rocsparseL37gtsv_nopivot_crpcr_pow2_shared_kernelILj256ELj64E21rocsparse_complex_numIfEEEviiiPKT1_S5_S5_PS3_
                                        ; -- End function
	.set _ZN9rocsparseL37gtsv_nopivot_crpcr_pow2_shared_kernelILj256ELj64E21rocsparse_complex_numIfEEEviiiPKT1_S5_S5_PS3_.num_vgpr, 38
	.set _ZN9rocsparseL37gtsv_nopivot_crpcr_pow2_shared_kernelILj256ELj64E21rocsparse_complex_numIfEEEviiiPKT1_S5_S5_PS3_.num_agpr, 0
	.set _ZN9rocsparseL37gtsv_nopivot_crpcr_pow2_shared_kernelILj256ELj64E21rocsparse_complex_numIfEEEviiiPKT1_S5_S5_PS3_.numbered_sgpr, 16
	.set _ZN9rocsparseL37gtsv_nopivot_crpcr_pow2_shared_kernelILj256ELj64E21rocsparse_complex_numIfEEEviiiPKT1_S5_S5_PS3_.num_named_barrier, 0
	.set _ZN9rocsparseL37gtsv_nopivot_crpcr_pow2_shared_kernelILj256ELj64E21rocsparse_complex_numIfEEEviiiPKT1_S5_S5_PS3_.private_seg_size, 0
	.set _ZN9rocsparseL37gtsv_nopivot_crpcr_pow2_shared_kernelILj256ELj64E21rocsparse_complex_numIfEEEviiiPKT1_S5_S5_PS3_.uses_vcc, 1
	.set _ZN9rocsparseL37gtsv_nopivot_crpcr_pow2_shared_kernelILj256ELj64E21rocsparse_complex_numIfEEEviiiPKT1_S5_S5_PS3_.uses_flat_scratch, 0
	.set _ZN9rocsparseL37gtsv_nopivot_crpcr_pow2_shared_kernelILj256ELj64E21rocsparse_complex_numIfEEEviiiPKT1_S5_S5_PS3_.has_dyn_sized_stack, 0
	.set _ZN9rocsparseL37gtsv_nopivot_crpcr_pow2_shared_kernelILj256ELj64E21rocsparse_complex_numIfEEEviiiPKT1_S5_S5_PS3_.has_recursion, 0
	.set _ZN9rocsparseL37gtsv_nopivot_crpcr_pow2_shared_kernelILj256ELj64E21rocsparse_complex_numIfEEEviiiPKT1_S5_S5_PS3_.has_indirect_call, 0
	.section	.AMDGPU.csdata,"",@progbits
; Kernel info:
; codeLenInByte = 6768
; TotalNumSgprs: 20
; NumVgprs: 38
; ScratchSize: 0
; MemoryBound: 0
; FloatMode: 240
; IeeeMode: 1
; LDSByteSize: 23040 bytes/workgroup (compile time only)
; SGPRBlocks: 12
; VGPRBlocks: 21
; NumSGPRsForWavesPerEU: 102
; NumVGPRsForWavesPerEU: 85
; Occupancy: 2
; WaveLimiterHint : 1
; COMPUTE_PGM_RSRC2:SCRATCH_EN: 0
; COMPUTE_PGM_RSRC2:USER_SGPR: 6
; COMPUTE_PGM_RSRC2:TRAP_HANDLER: 0
; COMPUTE_PGM_RSRC2:TGID_X_EN: 1
; COMPUTE_PGM_RSRC2:TGID_Y_EN: 0
; COMPUTE_PGM_RSRC2:TGID_Z_EN: 0
; COMPUTE_PGM_RSRC2:TIDIG_COMP_CNT: 0
	.section	.text._ZN9rocsparseL30gtsv_nopivot_pcr_shared_kernelILj4E21rocsparse_complex_numIfEEEviiiPKT0_S5_S5_PS3_,"axG",@progbits,_ZN9rocsparseL30gtsv_nopivot_pcr_shared_kernelILj4E21rocsparse_complex_numIfEEEviiiPKT0_S5_S5_PS3_,comdat
	.globl	_ZN9rocsparseL30gtsv_nopivot_pcr_shared_kernelILj4E21rocsparse_complex_numIfEEEviiiPKT0_S5_S5_PS3_ ; -- Begin function _ZN9rocsparseL30gtsv_nopivot_pcr_shared_kernelILj4E21rocsparse_complex_numIfEEEviiiPKT0_S5_S5_PS3_
	.p2align	8
	.type	_ZN9rocsparseL30gtsv_nopivot_pcr_shared_kernelILj4E21rocsparse_complex_numIfEEEviiiPKT0_S5_S5_PS3_,@function
_ZN9rocsparseL30gtsv_nopivot_pcr_shared_kernelILj4E21rocsparse_complex_numIfEEEviiiPKT0_S5_S5_PS3_: ; @_ZN9rocsparseL30gtsv_nopivot_pcr_shared_kernelILj4E21rocsparse_complex_numIfEEEviiiPKT0_S5_S5_PS3_
; %bb.0:
	s_load_dword s7, s[4:5], 0x0
	v_mov_b32_e32 v1, 0
	v_lshlrev_b32_e32 v5, 3, v0
	v_mov_b32_e32 v2, 0
	v_mov_b32_e32 v3, 0
	s_waitcnt lgkmcnt(0)
	v_cmp_gt_i32_e64 s[0:1], s7, v0
	s_and_saveexec_b64 s[2:3], s[0:1]
	s_cbranch_execz .LBB59_2
; %bb.1:
	s_load_dwordx2 s[8:9], s[4:5], 0x10
	s_waitcnt lgkmcnt(0)
	global_load_dwordx2 v[2:3], v5, s[8:9]
.LBB59_2:
	s_or_b64 exec, exec, s[2:3]
	s_waitcnt vmcnt(0)
	ds_write_b64 v5, v[2:3]
	v_mov_b32_e32 v2, 0
	s_and_saveexec_b64 s[2:3], s[0:1]
	s_cbranch_execz .LBB59_4
; %bb.3:
	s_load_dwordx2 s[8:9], s[4:5], 0x18
	s_waitcnt lgkmcnt(0)
	global_load_dwordx2 v[1:2], v5, s[8:9]
.LBB59_4:
	s_or_b64 exec, exec, s[2:3]
	s_load_dwordx2 s[2:3], s[4:5], 0x28
	s_waitcnt vmcnt(0)
	ds_write_b64 v5, v[1:2] offset:32
	v_mov_b32_e32 v2, 0
	v_mov_b32_e32 v3, 0
	v_mov_b32_e32 v4, 0
	s_and_saveexec_b64 s[8:9], s[0:1]
	s_cbranch_execz .LBB59_6
; %bb.5:
	s_load_dwordx2 s[10:11], s[4:5], 0x20
	s_waitcnt lgkmcnt(0)
	global_load_dwordx2 v[3:4], v5, s[10:11]
.LBB59_6:
	s_or_b64 exec, exec, s[8:9]
	s_load_dword s4, s[4:5], 0x8
	v_or_b32_e32 v7, 32, v5
	v_or_b32_e32 v6, 64, v5
	s_waitcnt vmcnt(0)
	ds_write_b64 v5, v[3:4] offset:64
	v_mov_b32_e32 v3, 0
	s_waitcnt lgkmcnt(0)
	s_mul_i32 s4, s4, s6
	v_add_u32_e32 v1, s4, v0
	s_and_saveexec_b64 s[4:5], s[0:1]
	s_cbranch_execz .LBB59_8
; %bb.7:
	v_mov_b32_e32 v2, 0
	v_lshlrev_b64 v[2:3], 3, v[1:2]
	v_mov_b32_e32 v4, s3
	v_add_co_u32_e32 v2, vcc, s2, v2
	v_addc_co_u32_e32 v3, vcc, v4, v3, vcc
	global_load_dwordx2 v[2:3], v[2:3], off
.LBB59_8:
	s_or_b64 exec, exec, s[4:5]
	s_waitcnt vmcnt(0)
	ds_write_b64 v5, v[2:3] offset:128
	s_add_i32 s4, s7, -1
	v_add_u32_e32 v2, 1, v0
	v_min_i32_e32 v4, s4, v2
	v_sub_u32_e64 v2, v0, 1 clamp
	s_waitcnt lgkmcnt(0)
	; wave barrier
	v_lshlrev_b32_e32 v14, 3, v2
	ds_read_b64 v[2:3], v5
	ds_read2_b64 v[8:11], v14 offset1:4
	v_lshlrev_b32_e32 v4, 3, v4
	s_waitcnt lgkmcnt(0)
	v_mul_f32_e32 v12, v11, v11
	v_fmac_f32_e32 v12, v10, v10
	v_div_scale_f32 v13, s[4:5], v12, v12, 1.0
	v_rcp_f32_e32 v15, v13
	v_fma_f32 v16, -v13, v15, 1.0
	v_fmac_f32_e32 v15, v16, v15
	v_div_scale_f32 v16, vcc, 1.0, v12, 1.0
	v_mul_f32_e32 v17, v16, v15
	v_fma_f32 v18, -v13, v17, v16
	v_fmac_f32_e32 v17, v18, v15
	v_fma_f32 v13, -v13, v17, v16
	v_div_fmas_f32 v13, v13, v15, v17
	v_div_fixup_f32 v12, v13, v12, 1.0
	v_mul_f32_e32 v13, v11, v3
	v_fmac_f32_e32 v13, v2, v10
	v_mul_f32_e64 v2, v11, -v2
	v_fmac_f32_e32 v2, v3, v10
	v_mul_f32_e32 v16, v12, v13
	v_mul_f32_e32 v17, v2, v12
	ds_read_b64 v[2:3], v6
	ds_read2_b64 v[10:13], v4 offset1:4
	s_waitcnt lgkmcnt(0)
	v_mul_f32_e32 v15, v13, v13
	v_fmac_f32_e32 v15, v12, v12
	v_div_scale_f32 v18, s[4:5], v15, v15, 1.0
	v_rcp_f32_e32 v19, v18
	v_fma_f32 v20, -v18, v19, 1.0
	v_fmac_f32_e32 v19, v20, v19
	v_div_scale_f32 v20, vcc, 1.0, v15, 1.0
	v_mul_f32_e32 v21, v20, v19
	v_fma_f32 v22, -v18, v21, v20
	v_fmac_f32_e32 v21, v22, v19
	v_fma_f32 v18, -v18, v21, v20
	v_div_fmas_f32 v18, v18, v19, v21
	v_cmp_gt_u32_e32 vcc, 2, v0
	v_div_fixup_f32 v15, v18, v15, 1.0
	v_mul_f32_e32 v18, v13, v3
	v_fmac_f32_e32 v18, v2, v12
	v_mul_f32_e64 v2, v13, -v2
	v_fmac_f32_e32 v2, v3, v12
	v_mul_f32_e32 v18, v15, v18
	v_mul_f32_e32 v19, v2, v15
	ds_read2_b64 v[12:15], v14 offset0:8 offset1:16
	ds_read_b64 v[2:3], v7
	s_waitcnt lgkmcnt(1)
	v_mul_f32_e64 v20, v17, -v13
	v_fmac_f32_e32 v20, v12, v16
	v_mul_f32_e32 v12, v17, v12
	v_fmac_f32_e32 v12, v13, v16
	s_waitcnt lgkmcnt(0)
	v_sub_f32_e32 v3, v3, v12
	v_mul_f32_e64 v12, v19, -v11
	v_fmac_f32_e32 v12, v10, v18
	v_mul_f32_e32 v10, v19, v10
	v_fmac_f32_e32 v10, v11, v18
	v_sub_f32_e32 v3, v3, v10
	ds_read_b64 v[10:11], v5 offset:128
	v_sub_f32_e32 v2, v2, v20
	v_sub_f32_e32 v2, v2, v12
	v_mul_f32_e64 v12, v17, -v15
	v_mul_f32_e32 v13, v17, v14
	v_fmac_f32_e32 v12, v14, v16
	v_fmac_f32_e32 v13, v15, v16
	s_waitcnt lgkmcnt(0)
	v_sub_f32_e32 v14, v10, v12
	v_sub_f32_e32 v15, v11, v13
	ds_read2_b64 v[10:13], v4 offset0:8 offset1:16
	s_waitcnt lgkmcnt(0)
	; wave barrier
	v_mul_f32_e64 v4, v19, -v13
	v_fmac_f32_e32 v4, v12, v18
	v_mul_f32_e32 v20, v19, v12
	v_sub_f32_e32 v12, v14, v4
	v_mul_f32_e32 v4, v17, v9
	v_fmac_f32_e32 v20, v13, v18
	v_fma_f32 v14, -v8, v16, v4
	v_mul_f32_e64 v4, v17, -v8
	v_sub_f32_e32 v13, v15, v20
	v_fma_f32 v15, -v9, v16, v4
	v_mul_f32_e32 v4, v19, v11
	v_fma_f32 v8, -v10, v18, v4
	v_mul_f32_e64 v4, v19, -v10
	v_fma_f32 v9, -v11, v18, v4
	ds_write_b64 v7, v[2:3]
	ds_write_b64 v5, v[12:13] offset:128
	ds_write_b64 v5, v[14:15]
	ds_write_b64 v6, v[8:9]
	s_waitcnt lgkmcnt(0)
	; wave barrier
	s_and_saveexec_b64 s[4:5], vcc
	s_cbranch_execz .LBB59_14
; %bb.9:
	v_or_b32_e32 v4, 2, v0
	v_or_b32_e32 v8, 0x80, v5
	v_cmp_le_i32_e32 vcc, s7, v4
                                        ; implicit-def: $vgpr3
	s_and_saveexec_b64 s[6:7], vcc
	s_xor_b64 s[6:7], exec, s[6:7]
	s_cbranch_execz .LBB59_11
; %bb.10:
	ds_read_b64 v[2:3], v7
	s_waitcnt lgkmcnt(0)
	v_mul_f32_e32 v4, v3, v3
	v_fmac_f32_e32 v4, v2, v2
	v_div_scale_f32 v6, s[8:9], v4, v4, 1.0
	v_div_scale_f32 v7, vcc, 1.0, v4, 1.0
	v_rcp_f32_e32 v9, v6
	v_fma_f32 v10, -v6, v9, 1.0
	v_fmac_f32_e32 v9, v10, v9
	v_mul_f32_e32 v10, v7, v9
	v_fma_f32 v11, -v6, v10, v7
	v_fmac_f32_e32 v10, v11, v9
	v_fma_f32 v6, -v6, v10, v7
	v_div_fmas_f32 v9, v6, v9, v10
	ds_read_b64 v[6:7], v8
	s_waitcnt lgkmcnt(0)
	v_mul_f32_e32 v8, v3, v7
	v_mul_f32_e64 v3, v3, -v6
	v_fmac_f32_e32 v8, v6, v2
	v_fmac_f32_e32 v3, v7, v2
                                        ; implicit-def: $vgpr7
                                        ; implicit-def: $vgpr6
	v_div_fixup_f32 v4, v9, v4, 1.0
	v_mul_f32_e32 v2, v4, v8
	v_mul_f32_e32 v3, v3, v4
                                        ; implicit-def: $vgpr8
                                        ; implicit-def: $vgpr4
.LBB59_11:
	s_andn2_saveexec_b64 s[6:7], s[6:7]
	s_cbranch_execz .LBB59_13
; %bb.12:
	ds_read2_b64 v[9:12], v7 offset1:2
	ds_read_b64 v[2:3], v6
	ds_read_b64 v[6:7], v5 offset:16
	ds_read2_b64 v[13:16], v8 offset1:2
	s_waitcnt lgkmcnt(3)
	v_mul_f32_e32 v17, v10, v11
	v_fmac_f32_e32 v17, v12, v9
	s_waitcnt lgkmcnt(1)
	v_mul_f32_e32 v8, v7, v2
	v_fmac_f32_e32 v8, v3, v6
	v_mul_f32_e64 v0, v10, -v12
	v_sub_f32_e32 v8, v17, v8
	s_waitcnt lgkmcnt(0)
	v_mul_f32_e64 v17, v14, -v12
	v_fmac_f32_e32 v0, v11, v9
	v_mul_f32_e64 v18, v7, -v3
	v_fmac_f32_e32 v17, v11, v13
	v_mul_f32_e32 v11, v14, v11
	v_fmac_f32_e32 v18, v2, v6
	v_fmac_f32_e32 v11, v12, v13
	v_mul_f32_e64 v12, v10, -v16
	v_mul_f32_e32 v10, v10, v15
	v_sub_f32_e32 v0, v0, v18
	v_fmac_f32_e32 v12, v15, v9
	v_fmac_f32_e32 v10, v16, v9
	v_mul_f32_e32 v9, v8, v8
	v_fmac_f32_e32 v9, v0, v0
	v_div_scale_f32 v18, s[8:9], v9, v9, 1.0
	v_rcp_f32_e32 v19, v18
	v_fma_f32 v20, -v18, v19, 1.0
	v_fmac_f32_e32 v19, v20, v19
	v_div_scale_f32 v20, vcc, 1.0, v9, 1.0
	v_mul_f32_e32 v21, v20, v19
	v_fma_f32 v22, -v18, v21, v20
	v_fmac_f32_e32 v21, v22, v19
	v_fma_f32 v18, -v18, v21, v20
	v_div_fmas_f32 v18, v18, v19, v21
	v_mul_f32_e64 v19, v16, -v3
	v_mul_f32_e32 v16, v16, v2
	v_fmac_f32_e32 v19, v2, v15
	v_fmac_f32_e32 v16, v3, v15
	v_mul_f32_e64 v15, v7, -v14
	v_mul_f32_e32 v7, v7, v13
	v_fma_f32 v2, 0, v8, v0
	v_fma_f32 v0, v0, 0, -v8
	v_fmac_f32_e32 v15, v13, v6
	v_fmac_f32_e32 v7, v14, v6
	v_sub_f32_e32 v6, v17, v19
	v_sub_f32_e32 v11, v11, v16
	v_div_fixup_f32 v3, v18, v9, 1.0
	v_mul_f32_e32 v0, v0, v3
	v_mul_f32_e32 v8, v2, v3
	v_mul_f32_e64 v2, v0, -v11
	v_mul_f32_e32 v3, v0, v6
	v_fmac_f32_e32 v2, v6, v8
	v_fmac_f32_e32 v3, v11, v8
	v_sub_f32_e32 v6, v10, v7
	ds_write_b64 v5, v[2:3] offset:96
	v_sub_f32_e32 v3, v12, v15
	v_mul_f32_e64 v2, v0, -v6
	v_fmac_f32_e32 v2, v3, v8
	v_mul_f32_e32 v3, v0, v3
	v_fmac_f32_e32 v3, v6, v8
	v_mov_b32_e32 v0, v4
.LBB59_13:
	s_or_b64 exec, exec, s[6:7]
	v_lshlrev_b32_e32 v0, 3, v0
	ds_write_b64 v0, v[2:3] offset:96
.LBB59_14:
	s_or_b64 exec, exec, s[4:5]
	s_waitcnt lgkmcnt(0)
	; wave barrier
	s_and_saveexec_b64 s[4:5], s[0:1]
	s_cbranch_execz .LBB59_16
; %bb.15:
	v_mov_b32_e32 v2, 0
	v_lshlrev_b64 v[0:1], 3, v[1:2]
	ds_read_b64 v[2:3], v5 offset:96
	v_mov_b32_e32 v4, s3
	v_add_co_u32_e32 v0, vcc, s2, v0
	v_addc_co_u32_e32 v1, vcc, v4, v1, vcc
	s_waitcnt lgkmcnt(0)
	global_store_dwordx2 v[0:1], v[2:3], off
.LBB59_16:
	s_endpgm
	.section	.rodata,"a",@progbits
	.p2align	6, 0x0
	.amdhsa_kernel _ZN9rocsparseL30gtsv_nopivot_pcr_shared_kernelILj4E21rocsparse_complex_numIfEEEviiiPKT0_S5_S5_PS3_
		.amdhsa_group_segment_fixed_size 160
		.amdhsa_private_segment_fixed_size 0
		.amdhsa_kernarg_size 48
		.amdhsa_user_sgpr_count 6
		.amdhsa_user_sgpr_private_segment_buffer 1
		.amdhsa_user_sgpr_dispatch_ptr 0
		.amdhsa_user_sgpr_queue_ptr 0
		.amdhsa_user_sgpr_kernarg_segment_ptr 1
		.amdhsa_user_sgpr_dispatch_id 0
		.amdhsa_user_sgpr_flat_scratch_init 0
		.amdhsa_user_sgpr_private_segment_size 0
		.amdhsa_uses_dynamic_stack 0
		.amdhsa_system_sgpr_private_segment_wavefront_offset 0
		.amdhsa_system_sgpr_workgroup_id_x 1
		.amdhsa_system_sgpr_workgroup_id_y 0
		.amdhsa_system_sgpr_workgroup_id_z 0
		.amdhsa_system_sgpr_workgroup_info 0
		.amdhsa_system_vgpr_workitem_id 0
		.amdhsa_next_free_vgpr 23
		.amdhsa_next_free_sgpr 12
		.amdhsa_reserve_vcc 1
		.amdhsa_reserve_flat_scratch 0
		.amdhsa_float_round_mode_32 0
		.amdhsa_float_round_mode_16_64 0
		.amdhsa_float_denorm_mode_32 3
		.amdhsa_float_denorm_mode_16_64 3
		.amdhsa_dx10_clamp 1
		.amdhsa_ieee_mode 1
		.amdhsa_fp16_overflow 0
		.amdhsa_exception_fp_ieee_invalid_op 0
		.amdhsa_exception_fp_denorm_src 0
		.amdhsa_exception_fp_ieee_div_zero 0
		.amdhsa_exception_fp_ieee_overflow 0
		.amdhsa_exception_fp_ieee_underflow 0
		.amdhsa_exception_fp_ieee_inexact 0
		.amdhsa_exception_int_div_zero 0
	.end_amdhsa_kernel
	.section	.text._ZN9rocsparseL30gtsv_nopivot_pcr_shared_kernelILj4E21rocsparse_complex_numIfEEEviiiPKT0_S5_S5_PS3_,"axG",@progbits,_ZN9rocsparseL30gtsv_nopivot_pcr_shared_kernelILj4E21rocsparse_complex_numIfEEEviiiPKT0_S5_S5_PS3_,comdat
.Lfunc_end59:
	.size	_ZN9rocsparseL30gtsv_nopivot_pcr_shared_kernelILj4E21rocsparse_complex_numIfEEEviiiPKT0_S5_S5_PS3_, .Lfunc_end59-_ZN9rocsparseL30gtsv_nopivot_pcr_shared_kernelILj4E21rocsparse_complex_numIfEEEviiiPKT0_S5_S5_PS3_
                                        ; -- End function
	.set _ZN9rocsparseL30gtsv_nopivot_pcr_shared_kernelILj4E21rocsparse_complex_numIfEEEviiiPKT0_S5_S5_PS3_.num_vgpr, 23
	.set _ZN9rocsparseL30gtsv_nopivot_pcr_shared_kernelILj4E21rocsparse_complex_numIfEEEviiiPKT0_S5_S5_PS3_.num_agpr, 0
	.set _ZN9rocsparseL30gtsv_nopivot_pcr_shared_kernelILj4E21rocsparse_complex_numIfEEEviiiPKT0_S5_S5_PS3_.numbered_sgpr, 12
	.set _ZN9rocsparseL30gtsv_nopivot_pcr_shared_kernelILj4E21rocsparse_complex_numIfEEEviiiPKT0_S5_S5_PS3_.num_named_barrier, 0
	.set _ZN9rocsparseL30gtsv_nopivot_pcr_shared_kernelILj4E21rocsparse_complex_numIfEEEviiiPKT0_S5_S5_PS3_.private_seg_size, 0
	.set _ZN9rocsparseL30gtsv_nopivot_pcr_shared_kernelILj4E21rocsparse_complex_numIfEEEviiiPKT0_S5_S5_PS3_.uses_vcc, 1
	.set _ZN9rocsparseL30gtsv_nopivot_pcr_shared_kernelILj4E21rocsparse_complex_numIfEEEviiiPKT0_S5_S5_PS3_.uses_flat_scratch, 0
	.set _ZN9rocsparseL30gtsv_nopivot_pcr_shared_kernelILj4E21rocsparse_complex_numIfEEEviiiPKT0_S5_S5_PS3_.has_dyn_sized_stack, 0
	.set _ZN9rocsparseL30gtsv_nopivot_pcr_shared_kernelILj4E21rocsparse_complex_numIfEEEviiiPKT0_S5_S5_PS3_.has_recursion, 0
	.set _ZN9rocsparseL30gtsv_nopivot_pcr_shared_kernelILj4E21rocsparse_complex_numIfEEEviiiPKT0_S5_S5_PS3_.has_indirect_call, 0
	.section	.AMDGPU.csdata,"",@progbits
; Kernel info:
; codeLenInByte = 1424
; TotalNumSgprs: 16
; NumVgprs: 23
; ScratchSize: 0
; MemoryBound: 0
; FloatMode: 240
; IeeeMode: 1
; LDSByteSize: 160 bytes/workgroup (compile time only)
; SGPRBlocks: 1
; VGPRBlocks: 5
; NumSGPRsForWavesPerEU: 16
; NumVGPRsForWavesPerEU: 23
; Occupancy: 10
; WaveLimiterHint : 0
; COMPUTE_PGM_RSRC2:SCRATCH_EN: 0
; COMPUTE_PGM_RSRC2:USER_SGPR: 6
; COMPUTE_PGM_RSRC2:TRAP_HANDLER: 0
; COMPUTE_PGM_RSRC2:TGID_X_EN: 1
; COMPUTE_PGM_RSRC2:TGID_Y_EN: 0
; COMPUTE_PGM_RSRC2:TGID_Z_EN: 0
; COMPUTE_PGM_RSRC2:TIDIG_COMP_CNT: 0
	.section	.text._ZN9rocsparseL30gtsv_nopivot_pcr_shared_kernelILj8E21rocsparse_complex_numIfEEEviiiPKT0_S5_S5_PS3_,"axG",@progbits,_ZN9rocsparseL30gtsv_nopivot_pcr_shared_kernelILj8E21rocsparse_complex_numIfEEEviiiPKT0_S5_S5_PS3_,comdat
	.globl	_ZN9rocsparseL30gtsv_nopivot_pcr_shared_kernelILj8E21rocsparse_complex_numIfEEEviiiPKT0_S5_S5_PS3_ ; -- Begin function _ZN9rocsparseL30gtsv_nopivot_pcr_shared_kernelILj8E21rocsparse_complex_numIfEEEviiiPKT0_S5_S5_PS3_
	.p2align	8
	.type	_ZN9rocsparseL30gtsv_nopivot_pcr_shared_kernelILj8E21rocsparse_complex_numIfEEEviiiPKT0_S5_S5_PS3_,@function
_ZN9rocsparseL30gtsv_nopivot_pcr_shared_kernelILj8E21rocsparse_complex_numIfEEEviiiPKT0_S5_S5_PS3_: ; @_ZN9rocsparseL30gtsv_nopivot_pcr_shared_kernelILj8E21rocsparse_complex_numIfEEEviiiPKT0_S5_S5_PS3_
; %bb.0:
	s_load_dword s7, s[4:5], 0x0
	v_mov_b32_e32 v1, 0
	v_lshlrev_b32_e32 v5, 3, v0
	v_mov_b32_e32 v2, 0
	v_mov_b32_e32 v3, 0
	s_waitcnt lgkmcnt(0)
	v_cmp_gt_i32_e64 s[0:1], s7, v0
	s_and_saveexec_b64 s[2:3], s[0:1]
	s_cbranch_execz .LBB60_2
; %bb.1:
	s_load_dwordx2 s[8:9], s[4:5], 0x10
	s_waitcnt lgkmcnt(0)
	global_load_dwordx2 v[2:3], v5, s[8:9]
.LBB60_2:
	s_or_b64 exec, exec, s[2:3]
	s_waitcnt vmcnt(0)
	ds_write_b64 v5, v[2:3]
	v_mov_b32_e32 v2, 0
	s_and_saveexec_b64 s[2:3], s[0:1]
	s_cbranch_execz .LBB60_4
; %bb.3:
	s_load_dwordx2 s[8:9], s[4:5], 0x18
	s_waitcnt lgkmcnt(0)
	global_load_dwordx2 v[1:2], v5, s[8:9]
.LBB60_4:
	s_or_b64 exec, exec, s[2:3]
	s_load_dwordx2 s[2:3], s[4:5], 0x28
	s_waitcnt vmcnt(0)
	ds_write_b64 v5, v[1:2] offset:64
	v_mov_b32_e32 v2, 0
	v_mov_b32_e32 v3, 0
	;; [unrolled: 1-line block ×3, first 2 shown]
	s_and_saveexec_b64 s[8:9], s[0:1]
	s_cbranch_execz .LBB60_6
; %bb.5:
	s_load_dwordx2 s[10:11], s[4:5], 0x20
	s_waitcnt lgkmcnt(0)
	global_load_dwordx2 v[3:4], v5, s[10:11]
.LBB60_6:
	s_or_b64 exec, exec, s[8:9]
	s_load_dword s4, s[4:5], 0x8
	v_or_b32_e32 v7, 64, v5
	v_or_b32_e32 v6, 0x80, v5
	s_waitcnt vmcnt(0)
	ds_write_b64 v5, v[3:4] offset:128
	v_mov_b32_e32 v3, 0
	s_waitcnt lgkmcnt(0)
	s_mul_i32 s4, s4, s6
	v_add_u32_e32 v1, s4, v0
	s_and_saveexec_b64 s[4:5], s[0:1]
	s_cbranch_execz .LBB60_8
; %bb.7:
	v_mov_b32_e32 v2, 0
	v_lshlrev_b64 v[2:3], 3, v[1:2]
	v_mov_b32_e32 v4, s3
	v_add_co_u32_e32 v2, vcc, s2, v2
	v_addc_co_u32_e32 v3, vcc, v4, v3, vcc
	global_load_dwordx2 v[2:3], v[2:3], off
.LBB60_8:
	s_or_b64 exec, exec, s[4:5]
	s_waitcnt vmcnt(0)
	ds_write_b64 v5, v[2:3] offset:256
	s_add_i32 s4, s7, -1
	v_add_u32_e32 v2, 1, v0
	v_min_i32_e32 v4, s4, v2
	v_sub_u32_e64 v2, v0, 1 clamp
	s_waitcnt lgkmcnt(0)
	; wave barrier
	v_lshlrev_b32_e32 v14, 3, v2
	ds_read_b64 v[2:3], v5
	ds_read2_b64 v[8:11], v14 offset1:8
	v_lshlrev_b32_e32 v4, 3, v4
	s_waitcnt lgkmcnt(0)
	v_mul_f32_e32 v12, v11, v11
	v_fmac_f32_e32 v12, v10, v10
	v_div_scale_f32 v13, s[8:9], v12, v12, 1.0
	v_rcp_f32_e32 v15, v13
	v_fma_f32 v16, -v13, v15, 1.0
	v_fmac_f32_e32 v15, v16, v15
	v_div_scale_f32 v16, vcc, 1.0, v12, 1.0
	v_mul_f32_e32 v17, v16, v15
	v_fma_f32 v18, -v13, v17, v16
	v_fmac_f32_e32 v17, v18, v15
	v_fma_f32 v13, -v13, v17, v16
	v_div_fmas_f32 v13, v13, v15, v17
	v_div_fixup_f32 v12, v13, v12, 1.0
	v_mul_f32_e32 v13, v11, v3
	v_fmac_f32_e32 v13, v2, v10
	v_mul_f32_e64 v2, v11, -v2
	v_fmac_f32_e32 v2, v3, v10
	v_mul_f32_e32 v16, v12, v13
	v_mul_f32_e32 v17, v2, v12
	ds_read_b64 v[2:3], v6
	ds_read2_b64 v[10:13], v4 offset1:8
	s_waitcnt lgkmcnt(0)
	v_mul_f32_e32 v15, v13, v13
	v_fmac_f32_e32 v15, v12, v12
	v_div_scale_f32 v18, s[8:9], v15, v15, 1.0
	v_rcp_f32_e32 v19, v18
	v_fma_f32 v20, -v18, v19, 1.0
	v_fmac_f32_e32 v19, v20, v19
	v_div_scale_f32 v20, vcc, 1.0, v15, 1.0
	v_mul_f32_e32 v21, v20, v19
	v_fma_f32 v22, -v18, v21, v20
	v_fmac_f32_e32 v21, v22, v19
	v_fma_f32 v18, -v18, v21, v20
	v_div_fmas_f32 v18, v18, v19, v21
	v_div_fixup_f32 v15, v18, v15, 1.0
	v_mul_f32_e32 v18, v13, v3
	v_fmac_f32_e32 v18, v2, v12
	v_mul_f32_e64 v2, v13, -v2
	v_fmac_f32_e32 v2, v3, v12
	v_mul_f32_e32 v18, v15, v18
	v_mul_f32_e32 v19, v2, v15
	ds_read2_b64 v[12:15], v14 offset0:16 offset1:32
	ds_read_b64 v[2:3], v7
	s_waitcnt lgkmcnt(1)
	v_mul_f32_e64 v20, v17, -v13
	v_fmac_f32_e32 v20, v12, v16
	v_mul_f32_e32 v12, v17, v12
	v_fmac_f32_e32 v12, v13, v16
	s_waitcnt lgkmcnt(0)
	v_sub_f32_e32 v3, v3, v12
	v_mul_f32_e64 v12, v19, -v11
	v_fmac_f32_e32 v12, v10, v18
	v_mul_f32_e32 v10, v19, v10
	v_fmac_f32_e32 v10, v11, v18
	v_sub_f32_e32 v3, v3, v10
	ds_read_b64 v[10:11], v5 offset:256
	v_sub_f32_e32 v2, v2, v20
	v_sub_f32_e32 v2, v2, v12
	v_mul_f32_e64 v12, v17, -v15
	v_mul_f32_e32 v13, v17, v14
	v_fmac_f32_e32 v12, v14, v16
	v_fmac_f32_e32 v13, v15, v16
	s_waitcnt lgkmcnt(0)
	v_sub_f32_e32 v14, v10, v12
	v_sub_f32_e32 v15, v11, v13
	ds_read2_b64 v[10:13], v4 offset0:16 offset1:32
	s_waitcnt lgkmcnt(0)
	; wave barrier
	v_mul_f32_e64 v4, v19, -v13
	v_fmac_f32_e32 v4, v12, v18
	v_mul_f32_e32 v20, v19, v12
	v_sub_f32_e32 v12, v14, v4
	v_mul_f32_e32 v4, v17, v9
	v_fmac_f32_e32 v20, v13, v18
	v_fma_f32 v14, -v8, v16, v4
	v_mul_f32_e64 v4, v17, -v8
	v_sub_f32_e32 v13, v15, v20
	v_fma_f32 v15, -v9, v16, v4
	v_mul_f32_e32 v4, v19, v11
	v_fma_f32 v8, -v10, v18, v4
	v_mul_f32_e64 v4, v19, -v10
	v_fma_f32 v9, -v11, v18, v4
	ds_write_b64 v7, v[2:3]
	ds_write_b64 v5, v[12:13] offset:256
	ds_write_b64 v5, v[14:15]
	ds_write_b64 v6, v[8:9]
	v_add_u32_e32 v2, 2, v0
	v_min_i32_e32 v4, s4, v2
	v_sub_u32_e64 v2, v0, 2 clamp
	s_waitcnt lgkmcnt(0)
	; wave barrier
	v_lshlrev_b32_e32 v14, 3, v2
	ds_read_b64 v[2:3], v5
	ds_read2_b64 v[8:11], v14 offset1:8
	v_lshlrev_b32_e32 v4, 3, v4
	s_waitcnt lgkmcnt(0)
	v_mul_f32_e32 v12, v11, v11
	v_fmac_f32_e32 v12, v10, v10
	v_div_scale_f32 v13, s[4:5], v12, v12, 1.0
	v_rcp_f32_e32 v15, v13
	v_fma_f32 v16, -v13, v15, 1.0
	v_fmac_f32_e32 v15, v16, v15
	v_div_scale_f32 v16, vcc, 1.0, v12, 1.0
	v_mul_f32_e32 v17, v16, v15
	v_fma_f32 v18, -v13, v17, v16
	v_fmac_f32_e32 v17, v18, v15
	v_fma_f32 v13, -v13, v17, v16
	v_div_fmas_f32 v13, v13, v15, v17
	v_div_fixup_f32 v12, v13, v12, 1.0
	v_mul_f32_e32 v13, v11, v3
	v_fmac_f32_e32 v13, v2, v10
	v_mul_f32_e64 v2, v11, -v2
	v_fmac_f32_e32 v2, v3, v10
	v_mul_f32_e32 v16, v12, v13
	v_mul_f32_e32 v17, v2, v12
	ds_read_b64 v[2:3], v6
	ds_read2_b64 v[10:13], v4 offset1:8
	s_waitcnt lgkmcnt(0)
	v_mul_f32_e32 v15, v13, v13
	v_fmac_f32_e32 v15, v12, v12
	v_div_scale_f32 v18, s[4:5], v15, v15, 1.0
	v_rcp_f32_e32 v19, v18
	v_fma_f32 v20, -v18, v19, 1.0
	v_fmac_f32_e32 v19, v20, v19
	v_div_scale_f32 v20, vcc, 1.0, v15, 1.0
	v_mul_f32_e32 v21, v20, v19
	v_fma_f32 v22, -v18, v21, v20
	v_fmac_f32_e32 v21, v22, v19
	v_fma_f32 v18, -v18, v21, v20
	v_div_fmas_f32 v18, v18, v19, v21
	v_cmp_gt_u32_e32 vcc, 4, v0
	v_div_fixup_f32 v15, v18, v15, 1.0
	v_mul_f32_e32 v18, v13, v3
	v_fmac_f32_e32 v18, v2, v12
	v_mul_f32_e64 v2, v13, -v2
	v_fmac_f32_e32 v2, v3, v12
	v_mul_f32_e32 v18, v15, v18
	v_mul_f32_e32 v19, v2, v15
	ds_read2_b64 v[12:15], v14 offset0:16 offset1:32
	ds_read_b64 v[2:3], v7
	s_waitcnt lgkmcnt(1)
	v_mul_f32_e64 v20, v17, -v13
	v_fmac_f32_e32 v20, v12, v16
	v_mul_f32_e32 v12, v17, v12
	v_fmac_f32_e32 v12, v13, v16
	s_waitcnt lgkmcnt(0)
	v_sub_f32_e32 v3, v3, v12
	v_mul_f32_e64 v12, v19, -v11
	v_fmac_f32_e32 v12, v10, v18
	v_mul_f32_e32 v10, v19, v10
	v_fmac_f32_e32 v10, v11, v18
	v_sub_f32_e32 v3, v3, v10
	ds_read_b64 v[10:11], v5 offset:256
	v_sub_f32_e32 v2, v2, v20
	v_sub_f32_e32 v2, v2, v12
	v_mul_f32_e64 v12, v17, -v15
	v_mul_f32_e32 v13, v17, v14
	v_fmac_f32_e32 v12, v14, v16
	v_fmac_f32_e32 v13, v15, v16
	s_waitcnt lgkmcnt(0)
	v_sub_f32_e32 v14, v10, v12
	v_sub_f32_e32 v15, v11, v13
	ds_read2_b64 v[10:13], v4 offset0:16 offset1:32
	s_waitcnt lgkmcnt(0)
	; wave barrier
	v_mul_f32_e64 v4, v19, -v13
	v_fmac_f32_e32 v4, v12, v18
	v_mul_f32_e32 v20, v19, v12
	v_sub_f32_e32 v12, v14, v4
	v_mul_f32_e32 v4, v17, v9
	v_fmac_f32_e32 v20, v13, v18
	v_fma_f32 v14, -v8, v16, v4
	v_mul_f32_e64 v4, v17, -v8
	v_sub_f32_e32 v13, v15, v20
	v_fma_f32 v15, -v9, v16, v4
	v_mul_f32_e32 v4, v19, v11
	v_fma_f32 v8, -v10, v18, v4
	v_mul_f32_e64 v4, v19, -v10
	v_fma_f32 v9, -v11, v18, v4
	ds_write_b64 v7, v[2:3]
	ds_write_b64 v5, v[12:13] offset:256
	ds_write_b64 v5, v[14:15]
	ds_write_b64 v6, v[8:9]
	s_waitcnt lgkmcnt(0)
	; wave barrier
	s_and_saveexec_b64 s[4:5], vcc
	s_cbranch_execz .LBB60_14
; %bb.9:
	v_or_b32_e32 v4, 4, v0
	v_or_b32_e32 v8, 0x100, v5
	v_cmp_le_i32_e32 vcc, s7, v4
                                        ; implicit-def: $vgpr3
	s_and_saveexec_b64 s[6:7], vcc
	s_xor_b64 s[6:7], exec, s[6:7]
	s_cbranch_execz .LBB60_11
; %bb.10:
	ds_read_b64 v[2:3], v7
	s_waitcnt lgkmcnt(0)
	v_mul_f32_e32 v4, v3, v3
	v_fmac_f32_e32 v4, v2, v2
	v_div_scale_f32 v6, s[8:9], v4, v4, 1.0
	v_div_scale_f32 v7, vcc, 1.0, v4, 1.0
	v_rcp_f32_e32 v9, v6
	v_fma_f32 v10, -v6, v9, 1.0
	v_fmac_f32_e32 v9, v10, v9
	v_mul_f32_e32 v10, v7, v9
	v_fma_f32 v11, -v6, v10, v7
	v_fmac_f32_e32 v10, v11, v9
	v_fma_f32 v6, -v6, v10, v7
	v_div_fmas_f32 v9, v6, v9, v10
	ds_read_b64 v[6:7], v8
	s_waitcnt lgkmcnt(0)
	v_mul_f32_e32 v8, v3, v7
	v_mul_f32_e64 v3, v3, -v6
	v_fmac_f32_e32 v8, v6, v2
	v_fmac_f32_e32 v3, v7, v2
                                        ; implicit-def: $vgpr7
                                        ; implicit-def: $vgpr6
	v_div_fixup_f32 v4, v9, v4, 1.0
	v_mul_f32_e32 v2, v4, v8
	v_mul_f32_e32 v3, v3, v4
                                        ; implicit-def: $vgpr8
                                        ; implicit-def: $vgpr4
.LBB60_11:
	s_andn2_saveexec_b64 s[6:7], s[6:7]
	s_cbranch_execz .LBB60_13
; %bb.12:
	ds_read2_b64 v[9:12], v7 offset1:4
	ds_read_b64 v[2:3], v6
	ds_read_b64 v[6:7], v5 offset:32
	ds_read2_b64 v[13:16], v8 offset1:4
	s_waitcnt lgkmcnt(3)
	v_mul_f32_e32 v17, v10, v11
	v_fmac_f32_e32 v17, v12, v9
	s_waitcnt lgkmcnt(1)
	v_mul_f32_e32 v8, v7, v2
	v_fmac_f32_e32 v8, v3, v6
	v_mul_f32_e64 v0, v10, -v12
	v_sub_f32_e32 v8, v17, v8
	s_waitcnt lgkmcnt(0)
	v_mul_f32_e64 v17, v14, -v12
	v_fmac_f32_e32 v0, v11, v9
	v_mul_f32_e64 v18, v7, -v3
	v_fmac_f32_e32 v17, v11, v13
	v_mul_f32_e32 v11, v14, v11
	v_fmac_f32_e32 v18, v2, v6
	v_fmac_f32_e32 v11, v12, v13
	v_mul_f32_e64 v12, v10, -v16
	v_mul_f32_e32 v10, v10, v15
	v_sub_f32_e32 v0, v0, v18
	v_fmac_f32_e32 v12, v15, v9
	v_fmac_f32_e32 v10, v16, v9
	v_mul_f32_e32 v9, v8, v8
	v_fmac_f32_e32 v9, v0, v0
	v_div_scale_f32 v18, s[8:9], v9, v9, 1.0
	v_rcp_f32_e32 v19, v18
	v_fma_f32 v20, -v18, v19, 1.0
	v_fmac_f32_e32 v19, v20, v19
	v_div_scale_f32 v20, vcc, 1.0, v9, 1.0
	v_mul_f32_e32 v21, v20, v19
	v_fma_f32 v22, -v18, v21, v20
	v_fmac_f32_e32 v21, v22, v19
	v_fma_f32 v18, -v18, v21, v20
	v_div_fmas_f32 v18, v18, v19, v21
	v_mul_f32_e64 v19, v16, -v3
	v_mul_f32_e32 v16, v16, v2
	v_fmac_f32_e32 v19, v2, v15
	v_fmac_f32_e32 v16, v3, v15
	v_mul_f32_e64 v15, v7, -v14
	v_mul_f32_e32 v7, v7, v13
	v_fma_f32 v2, 0, v8, v0
	v_fma_f32 v0, v0, 0, -v8
	v_fmac_f32_e32 v15, v13, v6
	v_fmac_f32_e32 v7, v14, v6
	v_sub_f32_e32 v6, v17, v19
	v_sub_f32_e32 v11, v11, v16
	v_div_fixup_f32 v3, v18, v9, 1.0
	v_mul_f32_e32 v0, v0, v3
	v_mul_f32_e32 v8, v2, v3
	v_mul_f32_e64 v2, v0, -v11
	v_mul_f32_e32 v3, v0, v6
	v_fmac_f32_e32 v2, v6, v8
	v_fmac_f32_e32 v3, v11, v8
	v_sub_f32_e32 v6, v10, v7
	ds_write_b64 v5, v[2:3] offset:192
	v_sub_f32_e32 v3, v12, v15
	v_mul_f32_e64 v2, v0, -v6
	v_fmac_f32_e32 v2, v3, v8
	v_mul_f32_e32 v3, v0, v3
	v_fmac_f32_e32 v3, v6, v8
	v_mov_b32_e32 v0, v4
.LBB60_13:
	s_or_b64 exec, exec, s[6:7]
	v_lshlrev_b32_e32 v0, 3, v0
	ds_write_b64 v0, v[2:3] offset:192
.LBB60_14:
	s_or_b64 exec, exec, s[4:5]
	s_waitcnt lgkmcnt(0)
	; wave barrier
	s_and_saveexec_b64 s[4:5], s[0:1]
	s_cbranch_execz .LBB60_16
; %bb.15:
	v_mov_b32_e32 v2, 0
	v_lshlrev_b64 v[0:1], 3, v[1:2]
	ds_read_b64 v[2:3], v5 offset:192
	v_mov_b32_e32 v4, s3
	v_add_co_u32_e32 v0, vcc, s2, v0
	v_addc_co_u32_e32 v1, vcc, v4, v1, vcc
	s_waitcnt lgkmcnt(0)
	global_store_dwordx2 v[0:1], v[2:3], off
.LBB60_16:
	s_endpgm
	.section	.rodata,"a",@progbits
	.p2align	6, 0x0
	.amdhsa_kernel _ZN9rocsparseL30gtsv_nopivot_pcr_shared_kernelILj8E21rocsparse_complex_numIfEEEviiiPKT0_S5_S5_PS3_
		.amdhsa_group_segment_fixed_size 320
		.amdhsa_private_segment_fixed_size 0
		.amdhsa_kernarg_size 48
		.amdhsa_user_sgpr_count 6
		.amdhsa_user_sgpr_private_segment_buffer 1
		.amdhsa_user_sgpr_dispatch_ptr 0
		.amdhsa_user_sgpr_queue_ptr 0
		.amdhsa_user_sgpr_kernarg_segment_ptr 1
		.amdhsa_user_sgpr_dispatch_id 0
		.amdhsa_user_sgpr_flat_scratch_init 0
		.amdhsa_user_sgpr_private_segment_size 0
		.amdhsa_uses_dynamic_stack 0
		.amdhsa_system_sgpr_private_segment_wavefront_offset 0
		.amdhsa_system_sgpr_workgroup_id_x 1
		.amdhsa_system_sgpr_workgroup_id_y 0
		.amdhsa_system_sgpr_workgroup_id_z 0
		.amdhsa_system_sgpr_workgroup_info 0
		.amdhsa_system_vgpr_workitem_id 0
		.amdhsa_next_free_vgpr 23
		.amdhsa_next_free_sgpr 12
		.amdhsa_reserve_vcc 1
		.amdhsa_reserve_flat_scratch 0
		.amdhsa_float_round_mode_32 0
		.amdhsa_float_round_mode_16_64 0
		.amdhsa_float_denorm_mode_32 3
		.amdhsa_float_denorm_mode_16_64 3
		.amdhsa_dx10_clamp 1
		.amdhsa_ieee_mode 1
		.amdhsa_fp16_overflow 0
		.amdhsa_exception_fp_ieee_invalid_op 0
		.amdhsa_exception_fp_denorm_src 0
		.amdhsa_exception_fp_ieee_div_zero 0
		.amdhsa_exception_fp_ieee_overflow 0
		.amdhsa_exception_fp_ieee_underflow 0
		.amdhsa_exception_fp_ieee_inexact 0
		.amdhsa_exception_int_div_zero 0
	.end_amdhsa_kernel
	.section	.text._ZN9rocsparseL30gtsv_nopivot_pcr_shared_kernelILj8E21rocsparse_complex_numIfEEEviiiPKT0_S5_S5_PS3_,"axG",@progbits,_ZN9rocsparseL30gtsv_nopivot_pcr_shared_kernelILj8E21rocsparse_complex_numIfEEEviiiPKT0_S5_S5_PS3_,comdat
.Lfunc_end60:
	.size	_ZN9rocsparseL30gtsv_nopivot_pcr_shared_kernelILj8E21rocsparse_complex_numIfEEEviiiPKT0_S5_S5_PS3_, .Lfunc_end60-_ZN9rocsparseL30gtsv_nopivot_pcr_shared_kernelILj8E21rocsparse_complex_numIfEEEviiiPKT0_S5_S5_PS3_
                                        ; -- End function
	.set _ZN9rocsparseL30gtsv_nopivot_pcr_shared_kernelILj8E21rocsparse_complex_numIfEEEviiiPKT0_S5_S5_PS3_.num_vgpr, 23
	.set _ZN9rocsparseL30gtsv_nopivot_pcr_shared_kernelILj8E21rocsparse_complex_numIfEEEviiiPKT0_S5_S5_PS3_.num_agpr, 0
	.set _ZN9rocsparseL30gtsv_nopivot_pcr_shared_kernelILj8E21rocsparse_complex_numIfEEEviiiPKT0_S5_S5_PS3_.numbered_sgpr, 12
	.set _ZN9rocsparseL30gtsv_nopivot_pcr_shared_kernelILj8E21rocsparse_complex_numIfEEEviiiPKT0_S5_S5_PS3_.num_named_barrier, 0
	.set _ZN9rocsparseL30gtsv_nopivot_pcr_shared_kernelILj8E21rocsparse_complex_numIfEEEviiiPKT0_S5_S5_PS3_.private_seg_size, 0
	.set _ZN9rocsparseL30gtsv_nopivot_pcr_shared_kernelILj8E21rocsparse_complex_numIfEEEviiiPKT0_S5_S5_PS3_.uses_vcc, 1
	.set _ZN9rocsparseL30gtsv_nopivot_pcr_shared_kernelILj8E21rocsparse_complex_numIfEEEviiiPKT0_S5_S5_PS3_.uses_flat_scratch, 0
	.set _ZN9rocsparseL30gtsv_nopivot_pcr_shared_kernelILj8E21rocsparse_complex_numIfEEEviiiPKT0_S5_S5_PS3_.has_dyn_sized_stack, 0
	.set _ZN9rocsparseL30gtsv_nopivot_pcr_shared_kernelILj8E21rocsparse_complex_numIfEEEviiiPKT0_S5_S5_PS3_.has_recursion, 0
	.set _ZN9rocsparseL30gtsv_nopivot_pcr_shared_kernelILj8E21rocsparse_complex_numIfEEEviiiPKT0_S5_S5_PS3_.has_indirect_call, 0
	.section	.AMDGPU.csdata,"",@progbits
; Kernel info:
; codeLenInByte = 1960
; TotalNumSgprs: 16
; NumVgprs: 23
; ScratchSize: 0
; MemoryBound: 0
; FloatMode: 240
; IeeeMode: 1
; LDSByteSize: 320 bytes/workgroup (compile time only)
; SGPRBlocks: 1
; VGPRBlocks: 5
; NumSGPRsForWavesPerEU: 16
; NumVGPRsForWavesPerEU: 23
; Occupancy: 10
; WaveLimiterHint : 0
; COMPUTE_PGM_RSRC2:SCRATCH_EN: 0
; COMPUTE_PGM_RSRC2:USER_SGPR: 6
; COMPUTE_PGM_RSRC2:TRAP_HANDLER: 0
; COMPUTE_PGM_RSRC2:TGID_X_EN: 1
; COMPUTE_PGM_RSRC2:TGID_Y_EN: 0
; COMPUTE_PGM_RSRC2:TGID_Z_EN: 0
; COMPUTE_PGM_RSRC2:TIDIG_COMP_CNT: 0
	.section	.text._ZN9rocsparseL30gtsv_nopivot_pcr_shared_kernelILj16E21rocsparse_complex_numIfEEEviiiPKT0_S5_S5_PS3_,"axG",@progbits,_ZN9rocsparseL30gtsv_nopivot_pcr_shared_kernelILj16E21rocsparse_complex_numIfEEEviiiPKT0_S5_S5_PS3_,comdat
	.globl	_ZN9rocsparseL30gtsv_nopivot_pcr_shared_kernelILj16E21rocsparse_complex_numIfEEEviiiPKT0_S5_S5_PS3_ ; -- Begin function _ZN9rocsparseL30gtsv_nopivot_pcr_shared_kernelILj16E21rocsparse_complex_numIfEEEviiiPKT0_S5_S5_PS3_
	.p2align	8
	.type	_ZN9rocsparseL30gtsv_nopivot_pcr_shared_kernelILj16E21rocsparse_complex_numIfEEEviiiPKT0_S5_S5_PS3_,@function
_ZN9rocsparseL30gtsv_nopivot_pcr_shared_kernelILj16E21rocsparse_complex_numIfEEEviiiPKT0_S5_S5_PS3_: ; @_ZN9rocsparseL30gtsv_nopivot_pcr_shared_kernelILj16E21rocsparse_complex_numIfEEEviiiPKT0_S5_S5_PS3_
; %bb.0:
	s_load_dword s7, s[4:5], 0x0
	v_mov_b32_e32 v1, 0
	v_lshlrev_b32_e32 v5, 3, v0
	v_mov_b32_e32 v2, 0
	v_mov_b32_e32 v3, 0
	s_waitcnt lgkmcnt(0)
	v_cmp_gt_i32_e64 s[0:1], s7, v0
	s_and_saveexec_b64 s[2:3], s[0:1]
	s_cbranch_execz .LBB61_2
; %bb.1:
	s_load_dwordx2 s[8:9], s[4:5], 0x10
	s_waitcnt lgkmcnt(0)
	global_load_dwordx2 v[2:3], v5, s[8:9]
.LBB61_2:
	s_or_b64 exec, exec, s[2:3]
	s_waitcnt vmcnt(0)
	ds_write_b64 v5, v[2:3]
	v_mov_b32_e32 v2, 0
	s_and_saveexec_b64 s[2:3], s[0:1]
	s_cbranch_execz .LBB61_4
; %bb.3:
	s_load_dwordx2 s[8:9], s[4:5], 0x18
	s_waitcnt lgkmcnt(0)
	global_load_dwordx2 v[1:2], v5, s[8:9]
.LBB61_4:
	s_or_b64 exec, exec, s[2:3]
	s_load_dwordx2 s[2:3], s[4:5], 0x28
	s_waitcnt vmcnt(0)
	ds_write_b64 v5, v[1:2] offset:128
	v_mov_b32_e32 v2, 0
	v_mov_b32_e32 v3, 0
	;; [unrolled: 1-line block ×3, first 2 shown]
	s_and_saveexec_b64 s[8:9], s[0:1]
	s_cbranch_execz .LBB61_6
; %bb.5:
	s_load_dwordx2 s[10:11], s[4:5], 0x20
	s_waitcnt lgkmcnt(0)
	global_load_dwordx2 v[3:4], v5, s[10:11]
.LBB61_6:
	s_or_b64 exec, exec, s[8:9]
	s_load_dword s4, s[4:5], 0x8
	v_or_b32_e32 v7, 0x80, v5
	v_or_b32_e32 v6, 0x100, v5
	s_waitcnt vmcnt(0)
	ds_write_b64 v5, v[3:4] offset:256
	v_mov_b32_e32 v3, 0
	s_waitcnt lgkmcnt(0)
	s_mul_i32 s4, s4, s6
	v_add_u32_e32 v1, s4, v0
	s_and_saveexec_b64 s[4:5], s[0:1]
	s_cbranch_execz .LBB61_8
; %bb.7:
	v_mov_b32_e32 v2, 0
	v_lshlrev_b64 v[2:3], 3, v[1:2]
	v_mov_b32_e32 v4, s3
	v_add_co_u32_e32 v2, vcc, s2, v2
	v_addc_co_u32_e32 v3, vcc, v4, v3, vcc
	global_load_dwordx2 v[2:3], v[2:3], off
.LBB61_8:
	s_or_b64 exec, exec, s[4:5]
	s_waitcnt vmcnt(0)
	ds_write_b64 v5, v[2:3] offset:512
	s_add_i32 s4, s7, -1
	v_add_u32_e32 v2, 1, v0
	v_min_i32_e32 v4, s4, v2
	v_sub_u32_e64 v2, v0, 1 clamp
	s_waitcnt lgkmcnt(0)
	; wave barrier
	v_lshlrev_b32_e32 v14, 3, v2
	ds_read_b64 v[2:3], v5
	ds_read2_b64 v[8:11], v14 offset1:16
	v_lshlrev_b32_e32 v4, 3, v4
	s_waitcnt lgkmcnt(0)
	v_mul_f32_e32 v12, v11, v11
	v_fmac_f32_e32 v12, v10, v10
	v_div_scale_f32 v13, s[8:9], v12, v12, 1.0
	v_rcp_f32_e32 v15, v13
	v_fma_f32 v16, -v13, v15, 1.0
	v_fmac_f32_e32 v15, v16, v15
	v_div_scale_f32 v16, vcc, 1.0, v12, 1.0
	v_mul_f32_e32 v17, v16, v15
	v_fma_f32 v18, -v13, v17, v16
	v_fmac_f32_e32 v17, v18, v15
	v_fma_f32 v13, -v13, v17, v16
	v_div_fmas_f32 v13, v13, v15, v17
	v_div_fixup_f32 v12, v13, v12, 1.0
	v_mul_f32_e32 v13, v11, v3
	v_fmac_f32_e32 v13, v2, v10
	v_mul_f32_e64 v2, v11, -v2
	v_fmac_f32_e32 v2, v3, v10
	v_mul_f32_e32 v16, v12, v13
	v_mul_f32_e32 v17, v2, v12
	ds_read_b64 v[2:3], v6
	ds_read2_b64 v[10:13], v4 offset1:16
	s_waitcnt lgkmcnt(0)
	v_mul_f32_e32 v15, v13, v13
	v_fmac_f32_e32 v15, v12, v12
	v_div_scale_f32 v18, s[8:9], v15, v15, 1.0
	v_rcp_f32_e32 v19, v18
	v_fma_f32 v20, -v18, v19, 1.0
	v_fmac_f32_e32 v19, v20, v19
	v_div_scale_f32 v20, vcc, 1.0, v15, 1.0
	v_mul_f32_e32 v21, v20, v19
	v_fma_f32 v22, -v18, v21, v20
	v_fmac_f32_e32 v21, v22, v19
	v_fma_f32 v18, -v18, v21, v20
	v_div_fmas_f32 v18, v18, v19, v21
	v_div_fixup_f32 v15, v18, v15, 1.0
	v_mul_f32_e32 v18, v13, v3
	v_fmac_f32_e32 v18, v2, v12
	v_mul_f32_e64 v2, v13, -v2
	v_fmac_f32_e32 v2, v3, v12
	v_mul_f32_e32 v18, v15, v18
	v_mul_f32_e32 v19, v2, v15
	ds_read2_b64 v[12:15], v14 offset0:32 offset1:64
	ds_read_b64 v[2:3], v7
	s_waitcnt lgkmcnt(1)
	v_mul_f32_e64 v20, v17, -v13
	v_fmac_f32_e32 v20, v12, v16
	v_mul_f32_e32 v12, v17, v12
	v_fmac_f32_e32 v12, v13, v16
	s_waitcnt lgkmcnt(0)
	v_sub_f32_e32 v3, v3, v12
	v_mul_f32_e64 v12, v19, -v11
	v_fmac_f32_e32 v12, v10, v18
	v_mul_f32_e32 v10, v19, v10
	v_fmac_f32_e32 v10, v11, v18
	v_sub_f32_e32 v3, v3, v10
	ds_read_b64 v[10:11], v5 offset:512
	v_sub_f32_e32 v2, v2, v20
	v_sub_f32_e32 v2, v2, v12
	v_mul_f32_e64 v12, v17, -v15
	v_mul_f32_e32 v13, v17, v14
	v_fmac_f32_e32 v12, v14, v16
	v_fmac_f32_e32 v13, v15, v16
	s_waitcnt lgkmcnt(0)
	v_sub_f32_e32 v14, v10, v12
	v_sub_f32_e32 v15, v11, v13
	ds_read2_b64 v[10:13], v4 offset0:32 offset1:64
	s_waitcnt lgkmcnt(0)
	; wave barrier
	v_mul_f32_e64 v4, v19, -v13
	v_fmac_f32_e32 v4, v12, v18
	v_mul_f32_e32 v20, v19, v12
	v_sub_f32_e32 v12, v14, v4
	v_mul_f32_e32 v4, v17, v9
	v_fmac_f32_e32 v20, v13, v18
	v_fma_f32 v14, -v8, v16, v4
	v_mul_f32_e64 v4, v17, -v8
	v_sub_f32_e32 v13, v15, v20
	v_fma_f32 v15, -v9, v16, v4
	v_mul_f32_e32 v4, v19, v11
	v_fma_f32 v8, -v10, v18, v4
	v_mul_f32_e64 v4, v19, -v10
	v_fma_f32 v9, -v11, v18, v4
	ds_write_b64 v7, v[2:3]
	ds_write_b64 v5, v[12:13] offset:512
	ds_write_b64 v5, v[14:15]
	ds_write_b64 v6, v[8:9]
	v_add_u32_e32 v2, 2, v0
	v_min_i32_e32 v4, s4, v2
	v_sub_u32_e64 v2, v0, 2 clamp
	s_waitcnt lgkmcnt(0)
	; wave barrier
	v_lshlrev_b32_e32 v14, 3, v2
	ds_read_b64 v[2:3], v5
	ds_read2_b64 v[8:11], v14 offset1:16
	v_lshlrev_b32_e32 v4, 3, v4
	s_waitcnt lgkmcnt(0)
	v_mul_f32_e32 v12, v11, v11
	v_fmac_f32_e32 v12, v10, v10
	v_div_scale_f32 v13, s[8:9], v12, v12, 1.0
	v_rcp_f32_e32 v15, v13
	v_fma_f32 v16, -v13, v15, 1.0
	v_fmac_f32_e32 v15, v16, v15
	v_div_scale_f32 v16, vcc, 1.0, v12, 1.0
	v_mul_f32_e32 v17, v16, v15
	v_fma_f32 v18, -v13, v17, v16
	v_fmac_f32_e32 v17, v18, v15
	v_fma_f32 v13, -v13, v17, v16
	v_div_fmas_f32 v13, v13, v15, v17
	v_div_fixup_f32 v12, v13, v12, 1.0
	v_mul_f32_e32 v13, v11, v3
	v_fmac_f32_e32 v13, v2, v10
	v_mul_f32_e64 v2, v11, -v2
	v_fmac_f32_e32 v2, v3, v10
	v_mul_f32_e32 v16, v12, v13
	v_mul_f32_e32 v17, v2, v12
	ds_read_b64 v[2:3], v6
	ds_read2_b64 v[10:13], v4 offset1:16
	s_waitcnt lgkmcnt(0)
	v_mul_f32_e32 v15, v13, v13
	v_fmac_f32_e32 v15, v12, v12
	v_div_scale_f32 v18, s[8:9], v15, v15, 1.0
	v_rcp_f32_e32 v19, v18
	v_fma_f32 v20, -v18, v19, 1.0
	v_fmac_f32_e32 v19, v20, v19
	v_div_scale_f32 v20, vcc, 1.0, v15, 1.0
	v_mul_f32_e32 v21, v20, v19
	v_fma_f32 v22, -v18, v21, v20
	v_fmac_f32_e32 v21, v22, v19
	v_fma_f32 v18, -v18, v21, v20
	v_div_fmas_f32 v18, v18, v19, v21
	v_div_fixup_f32 v15, v18, v15, 1.0
	v_mul_f32_e32 v18, v13, v3
	v_fmac_f32_e32 v18, v2, v12
	v_mul_f32_e64 v2, v13, -v2
	v_fmac_f32_e32 v2, v3, v12
	v_mul_f32_e32 v18, v15, v18
	v_mul_f32_e32 v19, v2, v15
	ds_read2_b64 v[12:15], v14 offset0:32 offset1:64
	ds_read_b64 v[2:3], v7
	s_waitcnt lgkmcnt(1)
	v_mul_f32_e64 v20, v17, -v13
	v_fmac_f32_e32 v20, v12, v16
	v_mul_f32_e32 v12, v17, v12
	v_fmac_f32_e32 v12, v13, v16
	s_waitcnt lgkmcnt(0)
	v_sub_f32_e32 v3, v3, v12
	v_mul_f32_e64 v12, v19, -v11
	v_fmac_f32_e32 v12, v10, v18
	v_mul_f32_e32 v10, v19, v10
	v_fmac_f32_e32 v10, v11, v18
	v_sub_f32_e32 v3, v3, v10
	ds_read_b64 v[10:11], v5 offset:512
	v_sub_f32_e32 v2, v2, v20
	v_sub_f32_e32 v2, v2, v12
	v_mul_f32_e64 v12, v17, -v15
	v_mul_f32_e32 v13, v17, v14
	v_fmac_f32_e32 v12, v14, v16
	v_fmac_f32_e32 v13, v15, v16
	s_waitcnt lgkmcnt(0)
	v_sub_f32_e32 v14, v10, v12
	v_sub_f32_e32 v15, v11, v13
	ds_read2_b64 v[10:13], v4 offset0:32 offset1:64
	s_waitcnt lgkmcnt(0)
	; wave barrier
	v_mul_f32_e64 v4, v19, -v13
	v_fmac_f32_e32 v4, v12, v18
	v_mul_f32_e32 v20, v19, v12
	v_sub_f32_e32 v12, v14, v4
	v_mul_f32_e32 v4, v17, v9
	v_fmac_f32_e32 v20, v13, v18
	v_fma_f32 v14, -v8, v16, v4
	v_mul_f32_e64 v4, v17, -v8
	v_sub_f32_e32 v13, v15, v20
	v_fma_f32 v15, -v9, v16, v4
	v_mul_f32_e32 v4, v19, v11
	v_fma_f32 v8, -v10, v18, v4
	v_mul_f32_e64 v4, v19, -v10
	v_fma_f32 v9, -v11, v18, v4
	ds_write_b64 v7, v[2:3]
	ds_write_b64 v5, v[12:13] offset:512
	ds_write_b64 v5, v[14:15]
	ds_write_b64 v6, v[8:9]
	v_add_u32_e32 v2, 4, v0
	v_min_i32_e32 v4, s4, v2
	v_sub_u32_e64 v2, v0, 4 clamp
	s_waitcnt lgkmcnt(0)
	; wave barrier
	v_lshlrev_b32_e32 v14, 3, v2
	ds_read_b64 v[2:3], v5
	ds_read2_b64 v[8:11], v14 offset1:16
	v_lshlrev_b32_e32 v4, 3, v4
	s_waitcnt lgkmcnt(0)
	v_mul_f32_e32 v12, v11, v11
	v_fmac_f32_e32 v12, v10, v10
	v_div_scale_f32 v13, s[4:5], v12, v12, 1.0
	v_rcp_f32_e32 v15, v13
	v_fma_f32 v16, -v13, v15, 1.0
	v_fmac_f32_e32 v15, v16, v15
	v_div_scale_f32 v16, vcc, 1.0, v12, 1.0
	v_mul_f32_e32 v17, v16, v15
	v_fma_f32 v18, -v13, v17, v16
	v_fmac_f32_e32 v17, v18, v15
	v_fma_f32 v13, -v13, v17, v16
	v_div_fmas_f32 v13, v13, v15, v17
	v_div_fixup_f32 v12, v13, v12, 1.0
	v_mul_f32_e32 v13, v11, v3
	v_fmac_f32_e32 v13, v2, v10
	v_mul_f32_e64 v2, v11, -v2
	v_fmac_f32_e32 v2, v3, v10
	v_mul_f32_e32 v16, v12, v13
	v_mul_f32_e32 v17, v2, v12
	ds_read_b64 v[2:3], v6
	ds_read2_b64 v[10:13], v4 offset1:16
	s_waitcnt lgkmcnt(0)
	v_mul_f32_e32 v15, v13, v13
	v_fmac_f32_e32 v15, v12, v12
	v_div_scale_f32 v18, s[4:5], v15, v15, 1.0
	v_rcp_f32_e32 v19, v18
	v_fma_f32 v20, -v18, v19, 1.0
	v_fmac_f32_e32 v19, v20, v19
	v_div_scale_f32 v20, vcc, 1.0, v15, 1.0
	v_mul_f32_e32 v21, v20, v19
	v_fma_f32 v22, -v18, v21, v20
	v_fmac_f32_e32 v21, v22, v19
	v_fma_f32 v18, -v18, v21, v20
	v_div_fmas_f32 v18, v18, v19, v21
	v_cmp_gt_u32_e32 vcc, 8, v0
	v_div_fixup_f32 v15, v18, v15, 1.0
	v_mul_f32_e32 v18, v13, v3
	v_fmac_f32_e32 v18, v2, v12
	v_mul_f32_e64 v2, v13, -v2
	v_fmac_f32_e32 v2, v3, v12
	v_mul_f32_e32 v18, v15, v18
	v_mul_f32_e32 v19, v2, v15
	ds_read2_b64 v[12:15], v14 offset0:32 offset1:64
	ds_read_b64 v[2:3], v7
	s_waitcnt lgkmcnt(1)
	v_mul_f32_e64 v20, v17, -v13
	v_fmac_f32_e32 v20, v12, v16
	v_mul_f32_e32 v12, v17, v12
	v_fmac_f32_e32 v12, v13, v16
	s_waitcnt lgkmcnt(0)
	v_sub_f32_e32 v3, v3, v12
	v_mul_f32_e64 v12, v19, -v11
	v_fmac_f32_e32 v12, v10, v18
	v_mul_f32_e32 v10, v19, v10
	v_fmac_f32_e32 v10, v11, v18
	v_sub_f32_e32 v3, v3, v10
	ds_read_b64 v[10:11], v5 offset:512
	v_sub_f32_e32 v2, v2, v20
	v_sub_f32_e32 v2, v2, v12
	v_mul_f32_e64 v12, v17, -v15
	v_mul_f32_e32 v13, v17, v14
	v_fmac_f32_e32 v12, v14, v16
	v_fmac_f32_e32 v13, v15, v16
	s_waitcnt lgkmcnt(0)
	v_sub_f32_e32 v14, v10, v12
	v_sub_f32_e32 v15, v11, v13
	ds_read2_b64 v[10:13], v4 offset0:32 offset1:64
	s_waitcnt lgkmcnt(0)
	; wave barrier
	v_mul_f32_e64 v4, v19, -v13
	v_fmac_f32_e32 v4, v12, v18
	v_mul_f32_e32 v20, v19, v12
	v_sub_f32_e32 v12, v14, v4
	v_mul_f32_e32 v4, v17, v9
	v_fmac_f32_e32 v20, v13, v18
	v_fma_f32 v14, -v8, v16, v4
	v_mul_f32_e64 v4, v17, -v8
	v_sub_f32_e32 v13, v15, v20
	v_fma_f32 v15, -v9, v16, v4
	v_mul_f32_e32 v4, v19, v11
	v_fma_f32 v8, -v10, v18, v4
	v_mul_f32_e64 v4, v19, -v10
	v_fma_f32 v9, -v11, v18, v4
	ds_write_b64 v7, v[2:3]
	ds_write_b64 v5, v[12:13] offset:512
	ds_write_b64 v5, v[14:15]
	ds_write_b64 v6, v[8:9]
	s_waitcnt lgkmcnt(0)
	; wave barrier
	s_and_saveexec_b64 s[4:5], vcc
	s_cbranch_execz .LBB61_14
; %bb.9:
	v_or_b32_e32 v4, 8, v0
	v_or_b32_e32 v8, 0x200, v5
	v_cmp_le_i32_e32 vcc, s7, v4
                                        ; implicit-def: $vgpr3
	s_and_saveexec_b64 s[6:7], vcc
	s_xor_b64 s[6:7], exec, s[6:7]
	s_cbranch_execz .LBB61_11
; %bb.10:
	ds_read_b64 v[2:3], v7
	s_waitcnt lgkmcnt(0)
	v_mul_f32_e32 v4, v3, v3
	v_fmac_f32_e32 v4, v2, v2
	v_div_scale_f32 v6, s[8:9], v4, v4, 1.0
	v_div_scale_f32 v7, vcc, 1.0, v4, 1.0
	v_rcp_f32_e32 v9, v6
	v_fma_f32 v10, -v6, v9, 1.0
	v_fmac_f32_e32 v9, v10, v9
	v_mul_f32_e32 v10, v7, v9
	v_fma_f32 v11, -v6, v10, v7
	v_fmac_f32_e32 v10, v11, v9
	v_fma_f32 v6, -v6, v10, v7
	v_div_fmas_f32 v9, v6, v9, v10
	ds_read_b64 v[6:7], v8
	s_waitcnt lgkmcnt(0)
	v_mul_f32_e32 v8, v3, v7
	v_mul_f32_e64 v3, v3, -v6
	v_fmac_f32_e32 v8, v6, v2
	v_fmac_f32_e32 v3, v7, v2
                                        ; implicit-def: $vgpr7
                                        ; implicit-def: $vgpr6
	v_div_fixup_f32 v4, v9, v4, 1.0
	v_mul_f32_e32 v2, v4, v8
	v_mul_f32_e32 v3, v3, v4
                                        ; implicit-def: $vgpr8
                                        ; implicit-def: $vgpr4
.LBB61_11:
	s_andn2_saveexec_b64 s[6:7], s[6:7]
	s_cbranch_execz .LBB61_13
; %bb.12:
	ds_read2_b64 v[9:12], v7 offset1:8
	ds_read_b64 v[2:3], v6
	ds_read_b64 v[6:7], v5 offset:64
	ds_read2_b64 v[13:16], v8 offset1:8
	s_waitcnt lgkmcnt(3)
	v_mul_f32_e32 v17, v10, v11
	v_fmac_f32_e32 v17, v12, v9
	s_waitcnt lgkmcnt(1)
	v_mul_f32_e32 v8, v7, v2
	v_fmac_f32_e32 v8, v3, v6
	v_mul_f32_e64 v0, v10, -v12
	v_sub_f32_e32 v8, v17, v8
	s_waitcnt lgkmcnt(0)
	v_mul_f32_e64 v17, v14, -v12
	v_fmac_f32_e32 v0, v11, v9
	v_mul_f32_e64 v18, v7, -v3
	v_fmac_f32_e32 v17, v11, v13
	v_mul_f32_e32 v11, v14, v11
	v_fmac_f32_e32 v18, v2, v6
	v_fmac_f32_e32 v11, v12, v13
	v_mul_f32_e64 v12, v10, -v16
	v_mul_f32_e32 v10, v10, v15
	v_sub_f32_e32 v0, v0, v18
	v_fmac_f32_e32 v12, v15, v9
	v_fmac_f32_e32 v10, v16, v9
	v_mul_f32_e32 v9, v8, v8
	v_fmac_f32_e32 v9, v0, v0
	v_div_scale_f32 v18, s[8:9], v9, v9, 1.0
	v_rcp_f32_e32 v19, v18
	v_fma_f32 v20, -v18, v19, 1.0
	v_fmac_f32_e32 v19, v20, v19
	v_div_scale_f32 v20, vcc, 1.0, v9, 1.0
	v_mul_f32_e32 v21, v20, v19
	v_fma_f32 v22, -v18, v21, v20
	v_fmac_f32_e32 v21, v22, v19
	v_fma_f32 v18, -v18, v21, v20
	v_div_fmas_f32 v18, v18, v19, v21
	v_mul_f32_e64 v19, v16, -v3
	v_mul_f32_e32 v16, v16, v2
	v_fmac_f32_e32 v19, v2, v15
	v_fmac_f32_e32 v16, v3, v15
	v_mul_f32_e64 v15, v7, -v14
	v_mul_f32_e32 v7, v7, v13
	v_fma_f32 v2, 0, v8, v0
	v_fma_f32 v0, v0, 0, -v8
	v_fmac_f32_e32 v15, v13, v6
	v_fmac_f32_e32 v7, v14, v6
	v_sub_f32_e32 v6, v17, v19
	v_sub_f32_e32 v11, v11, v16
	v_div_fixup_f32 v3, v18, v9, 1.0
	v_mul_f32_e32 v0, v0, v3
	v_mul_f32_e32 v8, v2, v3
	v_mul_f32_e64 v2, v0, -v11
	v_mul_f32_e32 v3, v0, v6
	v_fmac_f32_e32 v2, v6, v8
	v_fmac_f32_e32 v3, v11, v8
	v_sub_f32_e32 v6, v10, v7
	ds_write_b64 v5, v[2:3] offset:384
	v_sub_f32_e32 v3, v12, v15
	v_mul_f32_e64 v2, v0, -v6
	v_fmac_f32_e32 v2, v3, v8
	v_mul_f32_e32 v3, v0, v3
	v_fmac_f32_e32 v3, v6, v8
	v_mov_b32_e32 v0, v4
.LBB61_13:
	s_or_b64 exec, exec, s[6:7]
	v_lshlrev_b32_e32 v0, 3, v0
	ds_write_b64 v0, v[2:3] offset:384
.LBB61_14:
	s_or_b64 exec, exec, s[4:5]
	s_waitcnt lgkmcnt(0)
	; wave barrier
	s_and_saveexec_b64 s[4:5], s[0:1]
	s_cbranch_execz .LBB61_16
; %bb.15:
	v_mov_b32_e32 v2, 0
	v_lshlrev_b64 v[0:1], 3, v[1:2]
	ds_read_b64 v[2:3], v5 offset:384
	v_mov_b32_e32 v4, s3
	v_add_co_u32_e32 v0, vcc, s2, v0
	v_addc_co_u32_e32 v1, vcc, v4, v1, vcc
	s_waitcnt lgkmcnt(0)
	global_store_dwordx2 v[0:1], v[2:3], off
.LBB61_16:
	s_endpgm
	.section	.rodata,"a",@progbits
	.p2align	6, 0x0
	.amdhsa_kernel _ZN9rocsparseL30gtsv_nopivot_pcr_shared_kernelILj16E21rocsparse_complex_numIfEEEviiiPKT0_S5_S5_PS3_
		.amdhsa_group_segment_fixed_size 640
		.amdhsa_private_segment_fixed_size 0
		.amdhsa_kernarg_size 48
		.amdhsa_user_sgpr_count 6
		.amdhsa_user_sgpr_private_segment_buffer 1
		.amdhsa_user_sgpr_dispatch_ptr 0
		.amdhsa_user_sgpr_queue_ptr 0
		.amdhsa_user_sgpr_kernarg_segment_ptr 1
		.amdhsa_user_sgpr_dispatch_id 0
		.amdhsa_user_sgpr_flat_scratch_init 0
		.amdhsa_user_sgpr_private_segment_size 0
		.amdhsa_uses_dynamic_stack 0
		.amdhsa_system_sgpr_private_segment_wavefront_offset 0
		.amdhsa_system_sgpr_workgroup_id_x 1
		.amdhsa_system_sgpr_workgroup_id_y 0
		.amdhsa_system_sgpr_workgroup_id_z 0
		.amdhsa_system_sgpr_workgroup_info 0
		.amdhsa_system_vgpr_workitem_id 0
		.amdhsa_next_free_vgpr 23
		.amdhsa_next_free_sgpr 12
		.amdhsa_reserve_vcc 1
		.amdhsa_reserve_flat_scratch 0
		.amdhsa_float_round_mode_32 0
		.amdhsa_float_round_mode_16_64 0
		.amdhsa_float_denorm_mode_32 3
		.amdhsa_float_denorm_mode_16_64 3
		.amdhsa_dx10_clamp 1
		.amdhsa_ieee_mode 1
		.amdhsa_fp16_overflow 0
		.amdhsa_exception_fp_ieee_invalid_op 0
		.amdhsa_exception_fp_denorm_src 0
		.amdhsa_exception_fp_ieee_div_zero 0
		.amdhsa_exception_fp_ieee_overflow 0
		.amdhsa_exception_fp_ieee_underflow 0
		.amdhsa_exception_fp_ieee_inexact 0
		.amdhsa_exception_int_div_zero 0
	.end_amdhsa_kernel
	.section	.text._ZN9rocsparseL30gtsv_nopivot_pcr_shared_kernelILj16E21rocsparse_complex_numIfEEEviiiPKT0_S5_S5_PS3_,"axG",@progbits,_ZN9rocsparseL30gtsv_nopivot_pcr_shared_kernelILj16E21rocsparse_complex_numIfEEEviiiPKT0_S5_S5_PS3_,comdat
.Lfunc_end61:
	.size	_ZN9rocsparseL30gtsv_nopivot_pcr_shared_kernelILj16E21rocsparse_complex_numIfEEEviiiPKT0_S5_S5_PS3_, .Lfunc_end61-_ZN9rocsparseL30gtsv_nopivot_pcr_shared_kernelILj16E21rocsparse_complex_numIfEEEviiiPKT0_S5_S5_PS3_
                                        ; -- End function
	.set _ZN9rocsparseL30gtsv_nopivot_pcr_shared_kernelILj16E21rocsparse_complex_numIfEEEviiiPKT0_S5_S5_PS3_.num_vgpr, 23
	.set _ZN9rocsparseL30gtsv_nopivot_pcr_shared_kernelILj16E21rocsparse_complex_numIfEEEviiiPKT0_S5_S5_PS3_.num_agpr, 0
	.set _ZN9rocsparseL30gtsv_nopivot_pcr_shared_kernelILj16E21rocsparse_complex_numIfEEEviiiPKT0_S5_S5_PS3_.numbered_sgpr, 12
	.set _ZN9rocsparseL30gtsv_nopivot_pcr_shared_kernelILj16E21rocsparse_complex_numIfEEEviiiPKT0_S5_S5_PS3_.num_named_barrier, 0
	.set _ZN9rocsparseL30gtsv_nopivot_pcr_shared_kernelILj16E21rocsparse_complex_numIfEEEviiiPKT0_S5_S5_PS3_.private_seg_size, 0
	.set _ZN9rocsparseL30gtsv_nopivot_pcr_shared_kernelILj16E21rocsparse_complex_numIfEEEviiiPKT0_S5_S5_PS3_.uses_vcc, 1
	.set _ZN9rocsparseL30gtsv_nopivot_pcr_shared_kernelILj16E21rocsparse_complex_numIfEEEviiiPKT0_S5_S5_PS3_.uses_flat_scratch, 0
	.set _ZN9rocsparseL30gtsv_nopivot_pcr_shared_kernelILj16E21rocsparse_complex_numIfEEEviiiPKT0_S5_S5_PS3_.has_dyn_sized_stack, 0
	.set _ZN9rocsparseL30gtsv_nopivot_pcr_shared_kernelILj16E21rocsparse_complex_numIfEEEviiiPKT0_S5_S5_PS3_.has_recursion, 0
	.set _ZN9rocsparseL30gtsv_nopivot_pcr_shared_kernelILj16E21rocsparse_complex_numIfEEEviiiPKT0_S5_S5_PS3_.has_indirect_call, 0
	.section	.AMDGPU.csdata,"",@progbits
; Kernel info:
; codeLenInByte = 2496
; TotalNumSgprs: 16
; NumVgprs: 23
; ScratchSize: 0
; MemoryBound: 0
; FloatMode: 240
; IeeeMode: 1
; LDSByteSize: 640 bytes/workgroup (compile time only)
; SGPRBlocks: 1
; VGPRBlocks: 5
; NumSGPRsForWavesPerEU: 16
; NumVGPRsForWavesPerEU: 23
; Occupancy: 10
; WaveLimiterHint : 0
; COMPUTE_PGM_RSRC2:SCRATCH_EN: 0
; COMPUTE_PGM_RSRC2:USER_SGPR: 6
; COMPUTE_PGM_RSRC2:TRAP_HANDLER: 0
; COMPUTE_PGM_RSRC2:TGID_X_EN: 1
; COMPUTE_PGM_RSRC2:TGID_Y_EN: 0
; COMPUTE_PGM_RSRC2:TGID_Z_EN: 0
; COMPUTE_PGM_RSRC2:TIDIG_COMP_CNT: 0
	.section	.text._ZN9rocsparseL30gtsv_nopivot_pcr_shared_kernelILj32E21rocsparse_complex_numIfEEEviiiPKT0_S5_S5_PS3_,"axG",@progbits,_ZN9rocsparseL30gtsv_nopivot_pcr_shared_kernelILj32E21rocsparse_complex_numIfEEEviiiPKT0_S5_S5_PS3_,comdat
	.globl	_ZN9rocsparseL30gtsv_nopivot_pcr_shared_kernelILj32E21rocsparse_complex_numIfEEEviiiPKT0_S5_S5_PS3_ ; -- Begin function _ZN9rocsparseL30gtsv_nopivot_pcr_shared_kernelILj32E21rocsparse_complex_numIfEEEviiiPKT0_S5_S5_PS3_
	.p2align	8
	.type	_ZN9rocsparseL30gtsv_nopivot_pcr_shared_kernelILj32E21rocsparse_complex_numIfEEEviiiPKT0_S5_S5_PS3_,@function
_ZN9rocsparseL30gtsv_nopivot_pcr_shared_kernelILj32E21rocsparse_complex_numIfEEEviiiPKT0_S5_S5_PS3_: ; @_ZN9rocsparseL30gtsv_nopivot_pcr_shared_kernelILj32E21rocsparse_complex_numIfEEEviiiPKT0_S5_S5_PS3_
; %bb.0:
	s_load_dword s7, s[4:5], 0x0
	v_mov_b32_e32 v1, 0
	v_lshlrev_b32_e32 v5, 3, v0
	v_mov_b32_e32 v2, 0
	v_mov_b32_e32 v3, 0
	s_waitcnt lgkmcnt(0)
	v_cmp_gt_i32_e64 s[0:1], s7, v0
	s_and_saveexec_b64 s[2:3], s[0:1]
	s_cbranch_execz .LBB62_2
; %bb.1:
	s_load_dwordx2 s[8:9], s[4:5], 0x10
	s_waitcnt lgkmcnt(0)
	global_load_dwordx2 v[2:3], v5, s[8:9]
.LBB62_2:
	s_or_b64 exec, exec, s[2:3]
	s_waitcnt vmcnt(0)
	ds_write_b64 v5, v[2:3]
	v_mov_b32_e32 v2, 0
	s_and_saveexec_b64 s[2:3], s[0:1]
	s_cbranch_execz .LBB62_4
; %bb.3:
	s_load_dwordx2 s[8:9], s[4:5], 0x18
	s_waitcnt lgkmcnt(0)
	global_load_dwordx2 v[1:2], v5, s[8:9]
.LBB62_4:
	s_or_b64 exec, exec, s[2:3]
	s_load_dwordx2 s[2:3], s[4:5], 0x28
	s_waitcnt vmcnt(0)
	ds_write_b64 v5, v[1:2] offset:256
	v_mov_b32_e32 v2, 0
	v_mov_b32_e32 v3, 0
	;; [unrolled: 1-line block ×3, first 2 shown]
	s_and_saveexec_b64 s[8:9], s[0:1]
	s_cbranch_execz .LBB62_6
; %bb.5:
	s_load_dwordx2 s[10:11], s[4:5], 0x20
	s_waitcnt lgkmcnt(0)
	global_load_dwordx2 v[3:4], v5, s[10:11]
.LBB62_6:
	s_or_b64 exec, exec, s[8:9]
	s_load_dword s4, s[4:5], 0x8
	v_or_b32_e32 v7, 0x100, v5
	v_or_b32_e32 v6, 0x200, v5
	s_waitcnt vmcnt(0)
	ds_write_b64 v5, v[3:4] offset:512
	v_mov_b32_e32 v3, 0
	s_waitcnt lgkmcnt(0)
	s_mul_i32 s4, s4, s6
	v_add_u32_e32 v1, s4, v0
	s_and_saveexec_b64 s[4:5], s[0:1]
	s_cbranch_execz .LBB62_8
; %bb.7:
	v_mov_b32_e32 v2, 0
	v_lshlrev_b64 v[2:3], 3, v[1:2]
	v_mov_b32_e32 v4, s3
	v_add_co_u32_e32 v2, vcc, s2, v2
	v_addc_co_u32_e32 v3, vcc, v4, v3, vcc
	global_load_dwordx2 v[2:3], v[2:3], off
.LBB62_8:
	s_or_b64 exec, exec, s[4:5]
	s_waitcnt vmcnt(0)
	ds_write_b64 v5, v[2:3] offset:1024
	s_add_i32 s4, s7, -1
	v_add_u32_e32 v2, 1, v0
	v_min_i32_e32 v4, s4, v2
	v_sub_u32_e64 v2, v0, 1 clamp
	s_waitcnt lgkmcnt(0)
	; wave barrier
	v_lshlrev_b32_e32 v14, 3, v2
	ds_read_b64 v[2:3], v5
	ds_read2_b64 v[8:11], v14 offset1:32
	v_lshlrev_b32_e32 v4, 3, v4
	s_waitcnt lgkmcnt(0)
	v_mul_f32_e32 v12, v11, v11
	v_fmac_f32_e32 v12, v10, v10
	v_div_scale_f32 v13, s[8:9], v12, v12, 1.0
	v_rcp_f32_e32 v15, v13
	v_fma_f32 v16, -v13, v15, 1.0
	v_fmac_f32_e32 v15, v16, v15
	v_div_scale_f32 v16, vcc, 1.0, v12, 1.0
	v_mul_f32_e32 v17, v16, v15
	v_fma_f32 v18, -v13, v17, v16
	v_fmac_f32_e32 v17, v18, v15
	v_fma_f32 v13, -v13, v17, v16
	v_div_fmas_f32 v13, v13, v15, v17
	v_div_fixup_f32 v12, v13, v12, 1.0
	v_mul_f32_e32 v13, v11, v3
	v_fmac_f32_e32 v13, v2, v10
	v_mul_f32_e64 v2, v11, -v2
	v_fmac_f32_e32 v2, v3, v10
	v_mul_f32_e32 v16, v12, v13
	v_mul_f32_e32 v17, v2, v12
	ds_read_b64 v[2:3], v6
	ds_read2_b64 v[10:13], v4 offset1:32
	s_waitcnt lgkmcnt(0)
	v_mul_f32_e32 v15, v13, v13
	v_fmac_f32_e32 v15, v12, v12
	v_div_scale_f32 v18, s[8:9], v15, v15, 1.0
	v_rcp_f32_e32 v19, v18
	v_fma_f32 v20, -v18, v19, 1.0
	v_fmac_f32_e32 v19, v20, v19
	v_div_scale_f32 v20, vcc, 1.0, v15, 1.0
	v_mul_f32_e32 v21, v20, v19
	v_fma_f32 v22, -v18, v21, v20
	v_fmac_f32_e32 v21, v22, v19
	v_fma_f32 v18, -v18, v21, v20
	v_div_fmas_f32 v18, v18, v19, v21
	v_div_fixup_f32 v15, v18, v15, 1.0
	v_mul_f32_e32 v18, v13, v3
	v_fmac_f32_e32 v18, v2, v12
	v_mul_f32_e64 v2, v13, -v2
	v_fmac_f32_e32 v2, v3, v12
	v_mul_f32_e32 v18, v15, v18
	v_mul_f32_e32 v19, v2, v15
	ds_read2st64_b64 v[12:15], v14 offset0:1 offset1:2
	ds_read_b64 v[2:3], v7
	s_waitcnt lgkmcnt(1)
	v_mul_f32_e64 v20, v17, -v13
	v_fmac_f32_e32 v20, v12, v16
	v_mul_f32_e32 v12, v17, v12
	v_fmac_f32_e32 v12, v13, v16
	s_waitcnt lgkmcnt(0)
	v_sub_f32_e32 v3, v3, v12
	v_mul_f32_e64 v12, v19, -v11
	v_fmac_f32_e32 v12, v10, v18
	v_mul_f32_e32 v10, v19, v10
	v_fmac_f32_e32 v10, v11, v18
	v_sub_f32_e32 v3, v3, v10
	ds_read_b64 v[10:11], v5 offset:1024
	v_sub_f32_e32 v2, v2, v20
	v_sub_f32_e32 v2, v2, v12
	v_mul_f32_e64 v12, v17, -v15
	v_mul_f32_e32 v13, v17, v14
	v_fmac_f32_e32 v12, v14, v16
	v_fmac_f32_e32 v13, v15, v16
	s_waitcnt lgkmcnt(0)
	v_sub_f32_e32 v14, v10, v12
	v_sub_f32_e32 v15, v11, v13
	ds_read2st64_b64 v[10:13], v4 offset0:1 offset1:2
	s_waitcnt lgkmcnt(0)
	; wave barrier
	v_mul_f32_e64 v4, v19, -v13
	v_fmac_f32_e32 v4, v12, v18
	v_mul_f32_e32 v20, v19, v12
	v_sub_f32_e32 v12, v14, v4
	v_mul_f32_e32 v4, v17, v9
	v_fmac_f32_e32 v20, v13, v18
	v_fma_f32 v14, -v8, v16, v4
	v_mul_f32_e64 v4, v17, -v8
	v_sub_f32_e32 v13, v15, v20
	v_fma_f32 v15, -v9, v16, v4
	v_mul_f32_e32 v4, v19, v11
	v_fma_f32 v8, -v10, v18, v4
	v_mul_f32_e64 v4, v19, -v10
	v_fma_f32 v9, -v11, v18, v4
	ds_write_b64 v7, v[2:3]
	ds_write_b64 v5, v[12:13] offset:1024
	ds_write_b64 v5, v[14:15]
	ds_write_b64 v6, v[8:9]
	v_add_u32_e32 v2, 2, v0
	v_min_i32_e32 v4, s4, v2
	v_sub_u32_e64 v2, v0, 2 clamp
	s_waitcnt lgkmcnt(0)
	; wave barrier
	v_lshlrev_b32_e32 v14, 3, v2
	ds_read_b64 v[2:3], v5
	ds_read2_b64 v[8:11], v14 offset1:32
	v_lshlrev_b32_e32 v4, 3, v4
	s_waitcnt lgkmcnt(0)
	v_mul_f32_e32 v12, v11, v11
	v_fmac_f32_e32 v12, v10, v10
	v_div_scale_f32 v13, s[8:9], v12, v12, 1.0
	v_rcp_f32_e32 v15, v13
	v_fma_f32 v16, -v13, v15, 1.0
	v_fmac_f32_e32 v15, v16, v15
	v_div_scale_f32 v16, vcc, 1.0, v12, 1.0
	v_mul_f32_e32 v17, v16, v15
	v_fma_f32 v18, -v13, v17, v16
	v_fmac_f32_e32 v17, v18, v15
	v_fma_f32 v13, -v13, v17, v16
	v_div_fmas_f32 v13, v13, v15, v17
	v_div_fixup_f32 v12, v13, v12, 1.0
	v_mul_f32_e32 v13, v11, v3
	v_fmac_f32_e32 v13, v2, v10
	v_mul_f32_e64 v2, v11, -v2
	v_fmac_f32_e32 v2, v3, v10
	v_mul_f32_e32 v16, v12, v13
	v_mul_f32_e32 v17, v2, v12
	ds_read_b64 v[2:3], v6
	ds_read2_b64 v[10:13], v4 offset1:32
	s_waitcnt lgkmcnt(0)
	v_mul_f32_e32 v15, v13, v13
	v_fmac_f32_e32 v15, v12, v12
	v_div_scale_f32 v18, s[8:9], v15, v15, 1.0
	v_rcp_f32_e32 v19, v18
	v_fma_f32 v20, -v18, v19, 1.0
	v_fmac_f32_e32 v19, v20, v19
	v_div_scale_f32 v20, vcc, 1.0, v15, 1.0
	v_mul_f32_e32 v21, v20, v19
	v_fma_f32 v22, -v18, v21, v20
	v_fmac_f32_e32 v21, v22, v19
	v_fma_f32 v18, -v18, v21, v20
	v_div_fmas_f32 v18, v18, v19, v21
	v_div_fixup_f32 v15, v18, v15, 1.0
	v_mul_f32_e32 v18, v13, v3
	v_fmac_f32_e32 v18, v2, v12
	v_mul_f32_e64 v2, v13, -v2
	v_fmac_f32_e32 v2, v3, v12
	v_mul_f32_e32 v18, v15, v18
	v_mul_f32_e32 v19, v2, v15
	ds_read2st64_b64 v[12:15], v14 offset0:1 offset1:2
	ds_read_b64 v[2:3], v7
	s_waitcnt lgkmcnt(1)
	v_mul_f32_e64 v20, v17, -v13
	v_fmac_f32_e32 v20, v12, v16
	v_mul_f32_e32 v12, v17, v12
	v_fmac_f32_e32 v12, v13, v16
	s_waitcnt lgkmcnt(0)
	v_sub_f32_e32 v3, v3, v12
	v_mul_f32_e64 v12, v19, -v11
	v_fmac_f32_e32 v12, v10, v18
	v_mul_f32_e32 v10, v19, v10
	v_fmac_f32_e32 v10, v11, v18
	v_sub_f32_e32 v3, v3, v10
	ds_read_b64 v[10:11], v5 offset:1024
	v_sub_f32_e32 v2, v2, v20
	v_sub_f32_e32 v2, v2, v12
	v_mul_f32_e64 v12, v17, -v15
	v_mul_f32_e32 v13, v17, v14
	v_fmac_f32_e32 v12, v14, v16
	v_fmac_f32_e32 v13, v15, v16
	s_waitcnt lgkmcnt(0)
	v_sub_f32_e32 v14, v10, v12
	v_sub_f32_e32 v15, v11, v13
	ds_read2st64_b64 v[10:13], v4 offset0:1 offset1:2
	s_waitcnt lgkmcnt(0)
	; wave barrier
	v_mul_f32_e64 v4, v19, -v13
	v_fmac_f32_e32 v4, v12, v18
	v_mul_f32_e32 v20, v19, v12
	v_sub_f32_e32 v12, v14, v4
	v_mul_f32_e32 v4, v17, v9
	v_fmac_f32_e32 v20, v13, v18
	v_fma_f32 v14, -v8, v16, v4
	v_mul_f32_e64 v4, v17, -v8
	v_sub_f32_e32 v13, v15, v20
	v_fma_f32 v15, -v9, v16, v4
	v_mul_f32_e32 v4, v19, v11
	v_fma_f32 v8, -v10, v18, v4
	v_mul_f32_e64 v4, v19, -v10
	v_fma_f32 v9, -v11, v18, v4
	ds_write_b64 v7, v[2:3]
	ds_write_b64 v5, v[12:13] offset:1024
	ds_write_b64 v5, v[14:15]
	ds_write_b64 v6, v[8:9]
	v_add_u32_e32 v2, 4, v0
	v_min_i32_e32 v4, s4, v2
	v_sub_u32_e64 v2, v0, 4 clamp
	s_waitcnt lgkmcnt(0)
	; wave barrier
	v_lshlrev_b32_e32 v14, 3, v2
	ds_read_b64 v[2:3], v5
	ds_read2_b64 v[8:11], v14 offset1:32
	v_lshlrev_b32_e32 v4, 3, v4
	s_waitcnt lgkmcnt(0)
	v_mul_f32_e32 v12, v11, v11
	v_fmac_f32_e32 v12, v10, v10
	v_div_scale_f32 v13, s[8:9], v12, v12, 1.0
	v_rcp_f32_e32 v15, v13
	v_fma_f32 v16, -v13, v15, 1.0
	v_fmac_f32_e32 v15, v16, v15
	v_div_scale_f32 v16, vcc, 1.0, v12, 1.0
	v_mul_f32_e32 v17, v16, v15
	v_fma_f32 v18, -v13, v17, v16
	v_fmac_f32_e32 v17, v18, v15
	v_fma_f32 v13, -v13, v17, v16
	v_div_fmas_f32 v13, v13, v15, v17
	v_div_fixup_f32 v12, v13, v12, 1.0
	v_mul_f32_e32 v13, v11, v3
	v_fmac_f32_e32 v13, v2, v10
	v_mul_f32_e64 v2, v11, -v2
	v_fmac_f32_e32 v2, v3, v10
	v_mul_f32_e32 v16, v12, v13
	v_mul_f32_e32 v17, v2, v12
	ds_read_b64 v[2:3], v6
	ds_read2_b64 v[10:13], v4 offset1:32
	s_waitcnt lgkmcnt(0)
	v_mul_f32_e32 v15, v13, v13
	v_fmac_f32_e32 v15, v12, v12
	v_div_scale_f32 v18, s[8:9], v15, v15, 1.0
	v_rcp_f32_e32 v19, v18
	v_fma_f32 v20, -v18, v19, 1.0
	v_fmac_f32_e32 v19, v20, v19
	v_div_scale_f32 v20, vcc, 1.0, v15, 1.0
	v_mul_f32_e32 v21, v20, v19
	v_fma_f32 v22, -v18, v21, v20
	v_fmac_f32_e32 v21, v22, v19
	v_fma_f32 v18, -v18, v21, v20
	v_div_fmas_f32 v18, v18, v19, v21
	v_div_fixup_f32 v15, v18, v15, 1.0
	v_mul_f32_e32 v18, v13, v3
	v_fmac_f32_e32 v18, v2, v12
	v_mul_f32_e64 v2, v13, -v2
	v_fmac_f32_e32 v2, v3, v12
	v_mul_f32_e32 v18, v15, v18
	v_mul_f32_e32 v19, v2, v15
	ds_read2st64_b64 v[12:15], v14 offset0:1 offset1:2
	ds_read_b64 v[2:3], v7
	s_waitcnt lgkmcnt(1)
	v_mul_f32_e64 v20, v17, -v13
	v_fmac_f32_e32 v20, v12, v16
	v_mul_f32_e32 v12, v17, v12
	v_fmac_f32_e32 v12, v13, v16
	s_waitcnt lgkmcnt(0)
	v_sub_f32_e32 v3, v3, v12
	v_mul_f32_e64 v12, v19, -v11
	v_fmac_f32_e32 v12, v10, v18
	v_mul_f32_e32 v10, v19, v10
	v_fmac_f32_e32 v10, v11, v18
	v_sub_f32_e32 v3, v3, v10
	ds_read_b64 v[10:11], v5 offset:1024
	v_sub_f32_e32 v2, v2, v20
	v_sub_f32_e32 v2, v2, v12
	v_mul_f32_e64 v12, v17, -v15
	v_mul_f32_e32 v13, v17, v14
	v_fmac_f32_e32 v12, v14, v16
	v_fmac_f32_e32 v13, v15, v16
	s_waitcnt lgkmcnt(0)
	v_sub_f32_e32 v14, v10, v12
	v_sub_f32_e32 v15, v11, v13
	ds_read2st64_b64 v[10:13], v4 offset0:1 offset1:2
	s_waitcnt lgkmcnt(0)
	; wave barrier
	v_mul_f32_e64 v4, v19, -v13
	v_fmac_f32_e32 v4, v12, v18
	v_mul_f32_e32 v20, v19, v12
	v_sub_f32_e32 v12, v14, v4
	v_mul_f32_e32 v4, v17, v9
	v_fmac_f32_e32 v20, v13, v18
	v_fma_f32 v14, -v8, v16, v4
	v_mul_f32_e64 v4, v17, -v8
	v_sub_f32_e32 v13, v15, v20
	v_fma_f32 v15, -v9, v16, v4
	v_mul_f32_e32 v4, v19, v11
	v_fma_f32 v8, -v10, v18, v4
	v_mul_f32_e64 v4, v19, -v10
	v_fma_f32 v9, -v11, v18, v4
	ds_write_b64 v7, v[2:3]
	ds_write_b64 v5, v[12:13] offset:1024
	ds_write_b64 v5, v[14:15]
	ds_write_b64 v6, v[8:9]
	v_add_u32_e32 v2, 8, v0
	v_min_i32_e32 v4, s4, v2
	v_sub_u32_e64 v2, v0, 8 clamp
	s_waitcnt lgkmcnt(0)
	; wave barrier
	v_lshlrev_b32_e32 v14, 3, v2
	ds_read_b64 v[2:3], v5
	ds_read2_b64 v[8:11], v14 offset1:32
	v_lshlrev_b32_e32 v4, 3, v4
	s_waitcnt lgkmcnt(0)
	v_mul_f32_e32 v12, v11, v11
	v_fmac_f32_e32 v12, v10, v10
	v_div_scale_f32 v13, s[4:5], v12, v12, 1.0
	v_rcp_f32_e32 v15, v13
	v_fma_f32 v16, -v13, v15, 1.0
	v_fmac_f32_e32 v15, v16, v15
	v_div_scale_f32 v16, vcc, 1.0, v12, 1.0
	v_mul_f32_e32 v17, v16, v15
	v_fma_f32 v18, -v13, v17, v16
	v_fmac_f32_e32 v17, v18, v15
	v_fma_f32 v13, -v13, v17, v16
	v_div_fmas_f32 v13, v13, v15, v17
	v_div_fixup_f32 v12, v13, v12, 1.0
	v_mul_f32_e32 v13, v11, v3
	v_fmac_f32_e32 v13, v2, v10
	v_mul_f32_e64 v2, v11, -v2
	v_fmac_f32_e32 v2, v3, v10
	v_mul_f32_e32 v16, v12, v13
	v_mul_f32_e32 v17, v2, v12
	ds_read_b64 v[2:3], v6
	ds_read2_b64 v[10:13], v4 offset1:32
	s_waitcnt lgkmcnt(0)
	v_mul_f32_e32 v15, v13, v13
	v_fmac_f32_e32 v15, v12, v12
	v_div_scale_f32 v18, s[4:5], v15, v15, 1.0
	v_rcp_f32_e32 v19, v18
	v_fma_f32 v20, -v18, v19, 1.0
	v_fmac_f32_e32 v19, v20, v19
	v_div_scale_f32 v20, vcc, 1.0, v15, 1.0
	v_mul_f32_e32 v21, v20, v19
	v_fma_f32 v22, -v18, v21, v20
	v_fmac_f32_e32 v21, v22, v19
	v_fma_f32 v18, -v18, v21, v20
	v_div_fmas_f32 v18, v18, v19, v21
	v_cmp_gt_u32_e32 vcc, 16, v0
	v_div_fixup_f32 v15, v18, v15, 1.0
	v_mul_f32_e32 v18, v13, v3
	v_fmac_f32_e32 v18, v2, v12
	v_mul_f32_e64 v2, v13, -v2
	v_fmac_f32_e32 v2, v3, v12
	v_mul_f32_e32 v18, v15, v18
	v_mul_f32_e32 v19, v2, v15
	ds_read2st64_b64 v[12:15], v14 offset0:1 offset1:2
	ds_read_b64 v[2:3], v7
	s_waitcnt lgkmcnt(1)
	v_mul_f32_e64 v20, v17, -v13
	v_fmac_f32_e32 v20, v12, v16
	v_mul_f32_e32 v12, v17, v12
	v_fmac_f32_e32 v12, v13, v16
	s_waitcnt lgkmcnt(0)
	v_sub_f32_e32 v3, v3, v12
	v_mul_f32_e64 v12, v19, -v11
	v_fmac_f32_e32 v12, v10, v18
	v_mul_f32_e32 v10, v19, v10
	v_fmac_f32_e32 v10, v11, v18
	v_sub_f32_e32 v3, v3, v10
	ds_read_b64 v[10:11], v5 offset:1024
	v_sub_f32_e32 v2, v2, v20
	v_sub_f32_e32 v2, v2, v12
	v_mul_f32_e64 v12, v17, -v15
	v_mul_f32_e32 v13, v17, v14
	v_fmac_f32_e32 v12, v14, v16
	v_fmac_f32_e32 v13, v15, v16
	s_waitcnt lgkmcnt(0)
	v_sub_f32_e32 v14, v10, v12
	v_sub_f32_e32 v15, v11, v13
	ds_read2st64_b64 v[10:13], v4 offset0:1 offset1:2
	s_waitcnt lgkmcnt(0)
	; wave barrier
	v_mul_f32_e64 v4, v19, -v13
	v_fmac_f32_e32 v4, v12, v18
	v_mul_f32_e32 v20, v19, v12
	v_sub_f32_e32 v12, v14, v4
	v_mul_f32_e32 v4, v17, v9
	v_fmac_f32_e32 v20, v13, v18
	v_fma_f32 v14, -v8, v16, v4
	v_mul_f32_e64 v4, v17, -v8
	v_sub_f32_e32 v13, v15, v20
	v_fma_f32 v15, -v9, v16, v4
	v_mul_f32_e32 v4, v19, v11
	v_fma_f32 v8, -v10, v18, v4
	v_mul_f32_e64 v4, v19, -v10
	v_fma_f32 v9, -v11, v18, v4
	ds_write_b64 v7, v[2:3]
	ds_write_b64 v5, v[12:13] offset:1024
	ds_write_b64 v5, v[14:15]
	ds_write_b64 v6, v[8:9]
	s_waitcnt lgkmcnt(0)
	; wave barrier
	s_and_saveexec_b64 s[4:5], vcc
	s_cbranch_execz .LBB62_14
; %bb.9:
	v_or_b32_e32 v4, 16, v0
	v_or_b32_e32 v8, 0x400, v5
	v_cmp_le_i32_e32 vcc, s7, v4
                                        ; implicit-def: $vgpr3
	s_and_saveexec_b64 s[6:7], vcc
	s_xor_b64 s[6:7], exec, s[6:7]
	s_cbranch_execz .LBB62_11
; %bb.10:
	ds_read_b64 v[2:3], v7
	s_waitcnt lgkmcnt(0)
	v_mul_f32_e32 v4, v3, v3
	v_fmac_f32_e32 v4, v2, v2
	v_div_scale_f32 v6, s[8:9], v4, v4, 1.0
	v_div_scale_f32 v7, vcc, 1.0, v4, 1.0
	v_rcp_f32_e32 v9, v6
	v_fma_f32 v10, -v6, v9, 1.0
	v_fmac_f32_e32 v9, v10, v9
	v_mul_f32_e32 v10, v7, v9
	v_fma_f32 v11, -v6, v10, v7
	v_fmac_f32_e32 v10, v11, v9
	v_fma_f32 v6, -v6, v10, v7
	v_div_fmas_f32 v9, v6, v9, v10
	ds_read_b64 v[6:7], v8
	s_waitcnt lgkmcnt(0)
	v_mul_f32_e32 v8, v3, v7
	v_mul_f32_e64 v3, v3, -v6
	v_fmac_f32_e32 v8, v6, v2
	v_fmac_f32_e32 v3, v7, v2
                                        ; implicit-def: $vgpr7
                                        ; implicit-def: $vgpr6
	v_div_fixup_f32 v4, v9, v4, 1.0
	v_mul_f32_e32 v2, v4, v8
	v_mul_f32_e32 v3, v3, v4
                                        ; implicit-def: $vgpr8
                                        ; implicit-def: $vgpr4
.LBB62_11:
	s_andn2_saveexec_b64 s[6:7], s[6:7]
	s_cbranch_execz .LBB62_13
; %bb.12:
	ds_read2_b64 v[9:12], v7 offset1:16
	ds_read_b64 v[2:3], v6
	ds_read_b64 v[6:7], v5 offset:128
	ds_read2_b64 v[13:16], v8 offset1:16
	s_waitcnt lgkmcnt(3)
	v_mul_f32_e32 v17, v10, v11
	v_fmac_f32_e32 v17, v12, v9
	s_waitcnt lgkmcnt(1)
	v_mul_f32_e32 v8, v7, v2
	v_fmac_f32_e32 v8, v3, v6
	v_mul_f32_e64 v0, v10, -v12
	v_sub_f32_e32 v8, v17, v8
	s_waitcnt lgkmcnt(0)
	v_mul_f32_e64 v17, v14, -v12
	v_fmac_f32_e32 v0, v11, v9
	v_mul_f32_e64 v18, v7, -v3
	v_fmac_f32_e32 v17, v11, v13
	v_mul_f32_e32 v11, v14, v11
	v_fmac_f32_e32 v18, v2, v6
	v_fmac_f32_e32 v11, v12, v13
	v_mul_f32_e64 v12, v10, -v16
	v_mul_f32_e32 v10, v10, v15
	v_sub_f32_e32 v0, v0, v18
	v_fmac_f32_e32 v12, v15, v9
	v_fmac_f32_e32 v10, v16, v9
	v_mul_f32_e32 v9, v8, v8
	v_fmac_f32_e32 v9, v0, v0
	v_div_scale_f32 v18, s[8:9], v9, v9, 1.0
	v_rcp_f32_e32 v19, v18
	v_fma_f32 v20, -v18, v19, 1.0
	v_fmac_f32_e32 v19, v20, v19
	v_div_scale_f32 v20, vcc, 1.0, v9, 1.0
	v_mul_f32_e32 v21, v20, v19
	v_fma_f32 v22, -v18, v21, v20
	v_fmac_f32_e32 v21, v22, v19
	v_fma_f32 v18, -v18, v21, v20
	v_div_fmas_f32 v18, v18, v19, v21
	v_mul_f32_e64 v19, v16, -v3
	v_mul_f32_e32 v16, v16, v2
	v_fmac_f32_e32 v19, v2, v15
	v_fmac_f32_e32 v16, v3, v15
	v_mul_f32_e64 v15, v7, -v14
	v_mul_f32_e32 v7, v7, v13
	v_fma_f32 v2, 0, v8, v0
	v_fma_f32 v0, v0, 0, -v8
	v_fmac_f32_e32 v15, v13, v6
	v_fmac_f32_e32 v7, v14, v6
	v_sub_f32_e32 v6, v17, v19
	v_sub_f32_e32 v11, v11, v16
	v_div_fixup_f32 v3, v18, v9, 1.0
	v_mul_f32_e32 v0, v0, v3
	v_mul_f32_e32 v8, v2, v3
	v_mul_f32_e64 v2, v0, -v11
	v_mul_f32_e32 v3, v0, v6
	v_fmac_f32_e32 v2, v6, v8
	v_fmac_f32_e32 v3, v11, v8
	v_sub_f32_e32 v6, v10, v7
	ds_write_b64 v5, v[2:3] offset:768
	v_sub_f32_e32 v3, v12, v15
	v_mul_f32_e64 v2, v0, -v6
	v_fmac_f32_e32 v2, v3, v8
	v_mul_f32_e32 v3, v0, v3
	v_fmac_f32_e32 v3, v6, v8
	v_mov_b32_e32 v0, v4
.LBB62_13:
	s_or_b64 exec, exec, s[6:7]
	v_lshlrev_b32_e32 v0, 3, v0
	ds_write_b64 v0, v[2:3] offset:768
.LBB62_14:
	s_or_b64 exec, exec, s[4:5]
	s_waitcnt lgkmcnt(0)
	; wave barrier
	s_and_saveexec_b64 s[4:5], s[0:1]
	s_cbranch_execz .LBB62_16
; %bb.15:
	v_mov_b32_e32 v2, 0
	v_lshlrev_b64 v[0:1], 3, v[1:2]
	ds_read_b64 v[2:3], v5 offset:768
	v_mov_b32_e32 v4, s3
	v_add_co_u32_e32 v0, vcc, s2, v0
	v_addc_co_u32_e32 v1, vcc, v4, v1, vcc
	s_waitcnt lgkmcnt(0)
	global_store_dwordx2 v[0:1], v[2:3], off
.LBB62_16:
	s_endpgm
	.section	.rodata,"a",@progbits
	.p2align	6, 0x0
	.amdhsa_kernel _ZN9rocsparseL30gtsv_nopivot_pcr_shared_kernelILj32E21rocsparse_complex_numIfEEEviiiPKT0_S5_S5_PS3_
		.amdhsa_group_segment_fixed_size 1280
		.amdhsa_private_segment_fixed_size 0
		.amdhsa_kernarg_size 48
		.amdhsa_user_sgpr_count 6
		.amdhsa_user_sgpr_private_segment_buffer 1
		.amdhsa_user_sgpr_dispatch_ptr 0
		.amdhsa_user_sgpr_queue_ptr 0
		.amdhsa_user_sgpr_kernarg_segment_ptr 1
		.amdhsa_user_sgpr_dispatch_id 0
		.amdhsa_user_sgpr_flat_scratch_init 0
		.amdhsa_user_sgpr_private_segment_size 0
		.amdhsa_uses_dynamic_stack 0
		.amdhsa_system_sgpr_private_segment_wavefront_offset 0
		.amdhsa_system_sgpr_workgroup_id_x 1
		.amdhsa_system_sgpr_workgroup_id_y 0
		.amdhsa_system_sgpr_workgroup_id_z 0
		.amdhsa_system_sgpr_workgroup_info 0
		.amdhsa_system_vgpr_workitem_id 0
		.amdhsa_next_free_vgpr 23
		.amdhsa_next_free_sgpr 12
		.amdhsa_reserve_vcc 1
		.amdhsa_reserve_flat_scratch 0
		.amdhsa_float_round_mode_32 0
		.amdhsa_float_round_mode_16_64 0
		.amdhsa_float_denorm_mode_32 3
		.amdhsa_float_denorm_mode_16_64 3
		.amdhsa_dx10_clamp 1
		.amdhsa_ieee_mode 1
		.amdhsa_fp16_overflow 0
		.amdhsa_exception_fp_ieee_invalid_op 0
		.amdhsa_exception_fp_denorm_src 0
		.amdhsa_exception_fp_ieee_div_zero 0
		.amdhsa_exception_fp_ieee_overflow 0
		.amdhsa_exception_fp_ieee_underflow 0
		.amdhsa_exception_fp_ieee_inexact 0
		.amdhsa_exception_int_div_zero 0
	.end_amdhsa_kernel
	.section	.text._ZN9rocsparseL30gtsv_nopivot_pcr_shared_kernelILj32E21rocsparse_complex_numIfEEEviiiPKT0_S5_S5_PS3_,"axG",@progbits,_ZN9rocsparseL30gtsv_nopivot_pcr_shared_kernelILj32E21rocsparse_complex_numIfEEEviiiPKT0_S5_S5_PS3_,comdat
.Lfunc_end62:
	.size	_ZN9rocsparseL30gtsv_nopivot_pcr_shared_kernelILj32E21rocsparse_complex_numIfEEEviiiPKT0_S5_S5_PS3_, .Lfunc_end62-_ZN9rocsparseL30gtsv_nopivot_pcr_shared_kernelILj32E21rocsparse_complex_numIfEEEviiiPKT0_S5_S5_PS3_
                                        ; -- End function
	.set _ZN9rocsparseL30gtsv_nopivot_pcr_shared_kernelILj32E21rocsparse_complex_numIfEEEviiiPKT0_S5_S5_PS3_.num_vgpr, 23
	.set _ZN9rocsparseL30gtsv_nopivot_pcr_shared_kernelILj32E21rocsparse_complex_numIfEEEviiiPKT0_S5_S5_PS3_.num_agpr, 0
	.set _ZN9rocsparseL30gtsv_nopivot_pcr_shared_kernelILj32E21rocsparse_complex_numIfEEEviiiPKT0_S5_S5_PS3_.numbered_sgpr, 12
	.set _ZN9rocsparseL30gtsv_nopivot_pcr_shared_kernelILj32E21rocsparse_complex_numIfEEEviiiPKT0_S5_S5_PS3_.num_named_barrier, 0
	.set _ZN9rocsparseL30gtsv_nopivot_pcr_shared_kernelILj32E21rocsparse_complex_numIfEEEviiiPKT0_S5_S5_PS3_.private_seg_size, 0
	.set _ZN9rocsparseL30gtsv_nopivot_pcr_shared_kernelILj32E21rocsparse_complex_numIfEEEviiiPKT0_S5_S5_PS3_.uses_vcc, 1
	.set _ZN9rocsparseL30gtsv_nopivot_pcr_shared_kernelILj32E21rocsparse_complex_numIfEEEviiiPKT0_S5_S5_PS3_.uses_flat_scratch, 0
	.set _ZN9rocsparseL30gtsv_nopivot_pcr_shared_kernelILj32E21rocsparse_complex_numIfEEEviiiPKT0_S5_S5_PS3_.has_dyn_sized_stack, 0
	.set _ZN9rocsparseL30gtsv_nopivot_pcr_shared_kernelILj32E21rocsparse_complex_numIfEEEviiiPKT0_S5_S5_PS3_.has_recursion, 0
	.set _ZN9rocsparseL30gtsv_nopivot_pcr_shared_kernelILj32E21rocsparse_complex_numIfEEEviiiPKT0_S5_S5_PS3_.has_indirect_call, 0
	.section	.AMDGPU.csdata,"",@progbits
; Kernel info:
; codeLenInByte = 3028
; TotalNumSgprs: 16
; NumVgprs: 23
; ScratchSize: 0
; MemoryBound: 0
; FloatMode: 240
; IeeeMode: 1
; LDSByteSize: 1280 bytes/workgroup (compile time only)
; SGPRBlocks: 1
; VGPRBlocks: 5
; NumSGPRsForWavesPerEU: 16
; NumVGPRsForWavesPerEU: 23
; Occupancy: 10
; WaveLimiterHint : 0
; COMPUTE_PGM_RSRC2:SCRATCH_EN: 0
; COMPUTE_PGM_RSRC2:USER_SGPR: 6
; COMPUTE_PGM_RSRC2:TRAP_HANDLER: 0
; COMPUTE_PGM_RSRC2:TGID_X_EN: 1
; COMPUTE_PGM_RSRC2:TGID_Y_EN: 0
; COMPUTE_PGM_RSRC2:TGID_Z_EN: 0
; COMPUTE_PGM_RSRC2:TIDIG_COMP_CNT: 0
	.section	.text._ZN9rocsparseL30gtsv_nopivot_pcr_shared_kernelILj64E21rocsparse_complex_numIfEEEviiiPKT0_S5_S5_PS3_,"axG",@progbits,_ZN9rocsparseL30gtsv_nopivot_pcr_shared_kernelILj64E21rocsparse_complex_numIfEEEviiiPKT0_S5_S5_PS3_,comdat
	.globl	_ZN9rocsparseL30gtsv_nopivot_pcr_shared_kernelILj64E21rocsparse_complex_numIfEEEviiiPKT0_S5_S5_PS3_ ; -- Begin function _ZN9rocsparseL30gtsv_nopivot_pcr_shared_kernelILj64E21rocsparse_complex_numIfEEEviiiPKT0_S5_S5_PS3_
	.p2align	8
	.type	_ZN9rocsparseL30gtsv_nopivot_pcr_shared_kernelILj64E21rocsparse_complex_numIfEEEviiiPKT0_S5_S5_PS3_,@function
_ZN9rocsparseL30gtsv_nopivot_pcr_shared_kernelILj64E21rocsparse_complex_numIfEEEviiiPKT0_S5_S5_PS3_: ; @_ZN9rocsparseL30gtsv_nopivot_pcr_shared_kernelILj64E21rocsparse_complex_numIfEEEviiiPKT0_S5_S5_PS3_
; %bb.0:
	s_load_dword s7, s[4:5], 0x0
	v_mov_b32_e32 v1, 0
	v_lshlrev_b32_e32 v5, 3, v0
	v_mov_b32_e32 v2, 0
	v_mov_b32_e32 v3, 0
	s_waitcnt lgkmcnt(0)
	v_cmp_gt_i32_e64 s[0:1], s7, v0
	s_and_saveexec_b64 s[2:3], s[0:1]
	s_cbranch_execz .LBB63_2
; %bb.1:
	s_load_dwordx2 s[8:9], s[4:5], 0x10
	s_waitcnt lgkmcnt(0)
	global_load_dwordx2 v[2:3], v5, s[8:9]
.LBB63_2:
	s_or_b64 exec, exec, s[2:3]
	s_waitcnt vmcnt(0)
	ds_write_b64 v5, v[2:3]
	v_mov_b32_e32 v2, 0
	s_and_saveexec_b64 s[2:3], s[0:1]
	s_cbranch_execz .LBB63_4
; %bb.3:
	s_load_dwordx2 s[8:9], s[4:5], 0x18
	s_waitcnt lgkmcnt(0)
	global_load_dwordx2 v[1:2], v5, s[8:9]
.LBB63_4:
	s_or_b64 exec, exec, s[2:3]
	s_load_dwordx2 s[8:9], s[4:5], 0x28
	s_waitcnt vmcnt(0)
	ds_write_b64 v5, v[1:2] offset:512
	v_mov_b32_e32 v2, 0
	v_mov_b32_e32 v3, 0
	;; [unrolled: 1-line block ×3, first 2 shown]
	s_and_saveexec_b64 s[2:3], s[0:1]
	s_cbranch_execz .LBB63_6
; %bb.5:
	s_load_dwordx2 s[10:11], s[4:5], 0x20
	s_waitcnt lgkmcnt(0)
	global_load_dwordx2 v[3:4], v5, s[10:11]
.LBB63_6:
	s_or_b64 exec, exec, s[2:3]
	s_load_dword s2, s[4:5], 0x8
	v_or_b32_e32 v7, 0x200, v5
	v_or_b32_e32 v6, 0x400, v5
	s_waitcnt vmcnt(0)
	ds_write_b64 v5, v[3:4] offset:1024
	v_mov_b32_e32 v3, 0
	s_waitcnt lgkmcnt(0)
	s_mul_i32 s2, s2, s6
	v_add_u32_e32 v1, s2, v0
	s_and_saveexec_b64 s[2:3], s[0:1]
	s_cbranch_execz .LBB63_8
; %bb.7:
	v_mov_b32_e32 v2, 0
	v_lshlrev_b64 v[2:3], 3, v[1:2]
	v_mov_b32_e32 v4, s9
	v_add_co_u32_e32 v2, vcc, s8, v2
	v_addc_co_u32_e32 v3, vcc, v4, v3, vcc
	global_load_dwordx2 v[2:3], v[2:3], off
.LBB63_8:
	s_or_b64 exec, exec, s[2:3]
	s_waitcnt vmcnt(0)
	ds_write_b64 v5, v[2:3] offset:2048
	v_sub_u32_e64 v2, v0, 1 clamp
	s_add_i32 s4, s7, -1
	v_lshlrev_b32_e32 v4, 3, v2
	v_add_u32_e32 v2, 1, v0
	s_waitcnt lgkmcnt(0)
	; wave barrier
	ds_read2st64_b64 v[8:11], v4 offset1:1
	v_min_i32_e32 v2, s4, v2
	v_lshlrev_b32_e32 v26, 3, v2
	ds_read2st64_b64 v[12:15], v26 offset1:1
	s_waitcnt lgkmcnt(1)
	v_mul_f32_e32 v16, v11, v11
	v_fmac_f32_e32 v16, v10, v10
	v_div_scale_f32 v2, s[2:3], v16, v16, 1.0
	s_waitcnt lgkmcnt(0)
	v_mul_f32_e32 v17, v15, v15
	v_fmac_f32_e32 v17, v14, v14
	v_div_scale_f32 v3, s[2:3], v17, v17, 1.0
	v_div_scale_f32 v18, vcc, 1.0, v16, 1.0
	v_div_scale_f32 v19, s[2:3], 1.0, v17, 1.0
	v_rcp_f32_e32 v20, v2
	v_rcp_f32_e32 v21, v3
	v_fma_f32 v22, -v2, v20, 1.0
	v_fmac_f32_e32 v20, v22, v20
	v_mul_f32_e32 v23, v18, v20
	v_fma_f32 v22, -v3, v21, 1.0
	v_fmac_f32_e32 v21, v22, v21
	v_fma_f32 v22, -v2, v23, v18
	v_fmac_f32_e32 v23, v22, v20
	v_mul_f32_e32 v24, v19, v21
	v_fma_f32 v2, -v2, v23, v18
	v_div_fmas_f32 v18, v2, v20, v23
	v_fma_f32 v2, -v3, v24, v19
	v_fmac_f32_e32 v24, v2, v21
	v_fma_f32 v2, -v3, v24, v19
	s_mov_b64 vcc, s[2:3]
	v_div_fmas_f32 v19, v2, v21, v24
	ds_read_b64 v[2:3], v5
	ds_read_b64 v[20:21], v6
	;; [unrolled: 1-line block ×3, first 2 shown]
	ds_read_b64 v[24:25], v5 offset:2048
	s_waitcnt lgkmcnt(3)
	v_mul_f32_e32 v27, v11, v3
	v_mul_f32_e64 v11, v11, -v2
	v_fmac_f32_e32 v27, v2, v10
	v_fmac_f32_e32 v11, v3, v10
	s_waitcnt lgkmcnt(2)
	v_mul_f32_e32 v3, v15, v21
	v_fmac_f32_e32 v3, v20, v14
	v_div_fixup_f32 v2, v18, v16, 1.0
	v_mul_f32_e32 v27, v2, v27
	v_mul_f32_e32 v28, v11, v2
	v_div_fixup_f32 v2, v19, v17, 1.0
	ds_read2st64_b64 v[16:19], v4 offset0:2 offset1:4
	v_mul_f32_e32 v4, v2, v3
	v_mul_f32_e64 v3, v15, -v20
	v_fmac_f32_e32 v3, v21, v14
	v_mul_f32_e32 v20, v3, v2
	s_waitcnt lgkmcnt(0)
	v_mul_f32_e64 v2, v28, -v17
	v_mul_f32_e32 v3, v28, v16
	v_fmac_f32_e32 v2, v16, v27
	v_fmac_f32_e32 v3, v17, v27
	v_mul_f32_e64 v10, v20, -v13
	v_mul_f32_e32 v11, v20, v12
	v_sub_f32_e32 v2, v22, v2
	v_sub_f32_e32 v3, v23, v3
	v_fmac_f32_e32 v10, v12, v4
	v_fmac_f32_e32 v11, v13, v4
	v_sub_f32_e32 v2, v2, v10
	v_sub_f32_e32 v3, v3, v11
	ds_read2st64_b64 v[10:13], v26 offset0:2 offset1:4
	v_mul_f32_e64 v14, v28, -v19
	v_fmac_f32_e32 v14, v18, v27
	v_mul_f32_e32 v15, v28, v18
	v_sub_f32_e32 v14, v24, v14
	s_waitcnt lgkmcnt(0)
	v_mul_f32_e64 v16, v20, -v13
	v_fmac_f32_e32 v16, v12, v4
	v_fmac_f32_e32 v15, v19, v27
	v_mul_f32_e32 v17, v20, v12
	v_sub_f32_e32 v12, v14, v16
	v_mul_f32_e32 v14, v28, v9
	v_sub_f32_e32 v15, v25, v15
	v_fmac_f32_e32 v17, v13, v4
	v_fma_f32 v14, -v8, v27, v14
	v_mul_f32_e64 v8, v28, -v8
	v_sub_f32_e32 v13, v15, v17
	v_fma_f32 v15, -v9, v27, v8
	v_mul_f32_e32 v8, v20, v11
	v_mul_f32_e64 v9, v20, -v10
	v_fma_f32 v8, -v10, v4, v8
	v_fma_f32 v9, -v11, v4, v9
	; wave barrier
	ds_write_b64 v7, v[2:3]
	ds_write_b64 v5, v[12:13] offset:2048
	ds_write_b64 v5, v[14:15]
	ds_write_b64 v6, v[8:9]
	v_sub_u32_e64 v2, v0, 2 clamp
	v_lshlrev_b32_e32 v4, 3, v2
	s_waitcnt lgkmcnt(0)
	; wave barrier
	ds_read2st64_b64 v[8:11], v4 offset1:1
	v_add_u32_e32 v2, 2, v0
	v_min_i32_e32 v2, s4, v2
	v_lshlrev_b32_e32 v26, 3, v2
	ds_read2st64_b64 v[12:15], v26 offset1:1
	s_waitcnt lgkmcnt(1)
	v_mul_f32_e32 v16, v11, v11
	v_fmac_f32_e32 v16, v10, v10
	v_div_scale_f32 v3, s[2:3], v16, v16, 1.0
	v_div_scale_f32 v2, vcc, 1.0, v16, 1.0
	s_waitcnt lgkmcnt(0)
	v_mul_f32_e32 v17, v15, v15
	v_fmac_f32_e32 v17, v14, v14
	v_div_scale_f32 v18, s[2:3], v17, v17, 1.0
	v_div_scale_f32 v20, s[2:3], 1.0, v17, 1.0
	v_rcp_f32_e32 v19, v3
	v_fma_f32 v21, -v3, v19, 1.0
	v_fmac_f32_e32 v19, v21, v19
	v_mul_f32_e32 v21, v2, v19
	v_fma_f32 v22, -v3, v21, v2
	v_fmac_f32_e32 v21, v22, v19
	v_fma_f32 v2, -v3, v21, v2
	v_rcp_f32_e32 v3, v18
	v_div_fmas_f32 v19, v2, v19, v21
	s_mov_b64 vcc, s[2:3]
	v_fma_f32 v2, -v18, v3, 1.0
	v_fmac_f32_e32 v3, v2, v3
	v_mul_f32_e32 v2, v20, v3
	v_fma_f32 v21, -v18, v2, v20
	v_fmac_f32_e32 v2, v21, v3
	v_fma_f32 v18, -v18, v2, v20
	v_div_fmas_f32 v18, v18, v3, v2
	ds_read_b64 v[2:3], v5
	ds_read_b64 v[20:21], v6
	;; [unrolled: 1-line block ×3, first 2 shown]
	ds_read_b64 v[24:25], v5 offset:2048
	v_div_fixup_f32 v16, v19, v16, 1.0
	s_waitcnt lgkmcnt(3)
	v_mul_f32_e32 v19, v11, v3
	v_fmac_f32_e32 v19, v2, v10
	v_mul_f32_e64 v2, v11, -v2
	v_fmac_f32_e32 v2, v3, v10
	v_mul_f32_e32 v27, v16, v19
	v_mul_f32_e32 v28, v2, v16
	s_waitcnt lgkmcnt(2)
	v_mul_f32_e32 v3, v15, v21
	v_fmac_f32_e32 v3, v20, v14
	v_div_fixup_f32 v2, v18, v17, 1.0
	ds_read2st64_b64 v[16:19], v4 offset0:2 offset1:4
	v_mul_f32_e32 v4, v2, v3
	v_mul_f32_e64 v3, v15, -v20
	v_fmac_f32_e32 v3, v21, v14
	v_mul_f32_e32 v20, v3, v2
	s_waitcnt lgkmcnt(0)
	v_mul_f32_e64 v2, v28, -v17
	v_mul_f32_e32 v3, v28, v16
	v_fmac_f32_e32 v2, v16, v27
	v_fmac_f32_e32 v3, v17, v27
	v_mul_f32_e64 v10, v20, -v13
	v_mul_f32_e32 v11, v20, v12
	v_sub_f32_e32 v2, v22, v2
	v_sub_f32_e32 v3, v23, v3
	v_fmac_f32_e32 v10, v12, v4
	v_fmac_f32_e32 v11, v13, v4
	v_sub_f32_e32 v2, v2, v10
	v_sub_f32_e32 v3, v3, v11
	ds_read2st64_b64 v[10:13], v26 offset0:2 offset1:4
	v_mul_f32_e64 v14, v28, -v19
	v_fmac_f32_e32 v14, v18, v27
	v_mul_f32_e32 v15, v28, v18
	v_sub_f32_e32 v14, v24, v14
	s_waitcnt lgkmcnt(0)
	v_mul_f32_e64 v16, v20, -v13
	v_fmac_f32_e32 v16, v12, v4
	v_fmac_f32_e32 v15, v19, v27
	v_mul_f32_e32 v17, v20, v12
	v_sub_f32_e32 v12, v14, v16
	v_mul_f32_e32 v14, v28, v9
	v_sub_f32_e32 v15, v25, v15
	v_fmac_f32_e32 v17, v13, v4
	v_fma_f32 v14, -v8, v27, v14
	v_mul_f32_e64 v8, v28, -v8
	v_sub_f32_e32 v13, v15, v17
	v_fma_f32 v15, -v9, v27, v8
	v_mul_f32_e32 v8, v20, v11
	v_mul_f32_e64 v9, v20, -v10
	v_fma_f32 v8, -v10, v4, v8
	v_fma_f32 v9, -v11, v4, v9
	; wave barrier
	ds_write_b64 v7, v[2:3]
	ds_write_b64 v5, v[12:13] offset:2048
	ds_write_b64 v5, v[14:15]
	ds_write_b64 v6, v[8:9]
	v_sub_u32_e64 v2, v0, 4 clamp
	v_lshlrev_b32_e32 v4, 3, v2
	s_waitcnt lgkmcnt(0)
	; wave barrier
	ds_read2st64_b64 v[8:11], v4 offset1:1
	v_add_u32_e32 v2, 4, v0
	v_min_i32_e32 v2, s4, v2
	v_lshlrev_b32_e32 v26, 3, v2
	ds_read2st64_b64 v[12:15], v26 offset1:1
	s_waitcnt lgkmcnt(1)
	v_mul_f32_e32 v16, v11, v11
	v_fmac_f32_e32 v16, v10, v10
	v_div_scale_f32 v3, s[2:3], v16, v16, 1.0
	v_div_scale_f32 v2, vcc, 1.0, v16, 1.0
	s_waitcnt lgkmcnt(0)
	v_mul_f32_e32 v17, v15, v15
	v_fmac_f32_e32 v17, v14, v14
	v_div_scale_f32 v18, s[2:3], v17, v17, 1.0
	v_div_scale_f32 v20, s[2:3], 1.0, v17, 1.0
	v_rcp_f32_e32 v19, v3
	v_fma_f32 v21, -v3, v19, 1.0
	v_fmac_f32_e32 v19, v21, v19
	v_mul_f32_e32 v21, v2, v19
	v_fma_f32 v22, -v3, v21, v2
	v_fmac_f32_e32 v21, v22, v19
	v_fma_f32 v2, -v3, v21, v2
	v_rcp_f32_e32 v3, v18
	v_div_fmas_f32 v19, v2, v19, v21
	s_mov_b64 vcc, s[2:3]
	v_fma_f32 v2, -v18, v3, 1.0
	v_fmac_f32_e32 v3, v2, v3
	v_mul_f32_e32 v2, v20, v3
	v_fma_f32 v21, -v18, v2, v20
	v_fmac_f32_e32 v2, v21, v3
	v_fma_f32 v18, -v18, v2, v20
	v_div_fmas_f32 v18, v18, v3, v2
	ds_read_b64 v[2:3], v5
	ds_read_b64 v[20:21], v6
	;; [unrolled: 1-line block ×3, first 2 shown]
	ds_read_b64 v[24:25], v5 offset:2048
	v_div_fixup_f32 v16, v19, v16, 1.0
	s_waitcnt lgkmcnt(3)
	v_mul_f32_e32 v19, v11, v3
	v_fmac_f32_e32 v19, v2, v10
	v_mul_f32_e64 v2, v11, -v2
	v_fmac_f32_e32 v2, v3, v10
	v_mul_f32_e32 v27, v16, v19
	v_mul_f32_e32 v28, v2, v16
	s_waitcnt lgkmcnt(2)
	v_mul_f32_e32 v3, v15, v21
	v_fmac_f32_e32 v3, v20, v14
	v_div_fixup_f32 v2, v18, v17, 1.0
	ds_read2st64_b64 v[16:19], v4 offset0:2 offset1:4
	v_mul_f32_e32 v4, v2, v3
	v_mul_f32_e64 v3, v15, -v20
	v_fmac_f32_e32 v3, v21, v14
	v_mul_f32_e32 v20, v3, v2
	s_waitcnt lgkmcnt(0)
	v_mul_f32_e64 v2, v28, -v17
	v_mul_f32_e32 v3, v28, v16
	v_fmac_f32_e32 v2, v16, v27
	v_fmac_f32_e32 v3, v17, v27
	v_mul_f32_e64 v10, v20, -v13
	v_mul_f32_e32 v11, v20, v12
	v_sub_f32_e32 v2, v22, v2
	v_sub_f32_e32 v3, v23, v3
	v_fmac_f32_e32 v10, v12, v4
	v_fmac_f32_e32 v11, v13, v4
	v_sub_f32_e32 v2, v2, v10
	v_sub_f32_e32 v3, v3, v11
	ds_read2st64_b64 v[10:13], v26 offset0:2 offset1:4
	v_mul_f32_e64 v14, v28, -v19
	v_fmac_f32_e32 v14, v18, v27
	v_mul_f32_e32 v15, v28, v18
	v_sub_f32_e32 v14, v24, v14
	s_waitcnt lgkmcnt(0)
	v_mul_f32_e64 v16, v20, -v13
	v_fmac_f32_e32 v16, v12, v4
	v_fmac_f32_e32 v15, v19, v27
	v_mul_f32_e32 v17, v20, v12
	v_sub_f32_e32 v12, v14, v16
	v_mul_f32_e32 v14, v28, v9
	v_sub_f32_e32 v15, v25, v15
	v_fmac_f32_e32 v17, v13, v4
	v_fma_f32 v14, -v8, v27, v14
	v_mul_f32_e64 v8, v28, -v8
	v_sub_f32_e32 v13, v15, v17
	v_fma_f32 v15, -v9, v27, v8
	v_mul_f32_e32 v8, v20, v11
	v_mul_f32_e64 v9, v20, -v10
	v_fma_f32 v8, -v10, v4, v8
	v_fma_f32 v9, -v11, v4, v9
	; wave barrier
	ds_write_b64 v7, v[2:3]
	ds_write_b64 v5, v[12:13] offset:2048
	ds_write_b64 v5, v[14:15]
	ds_write_b64 v6, v[8:9]
	v_sub_u32_e64 v2, v0, 8 clamp
	v_lshlrev_b32_e32 v4, 3, v2
	s_waitcnt lgkmcnt(0)
	; wave barrier
	ds_read2st64_b64 v[8:11], v4 offset1:1
	v_add_u32_e32 v2, 8, v0
	v_min_i32_e32 v2, s4, v2
	v_lshlrev_b32_e32 v26, 3, v2
	ds_read2st64_b64 v[12:15], v26 offset1:1
	s_waitcnt lgkmcnt(1)
	v_mul_f32_e32 v16, v11, v11
	v_fmac_f32_e32 v16, v10, v10
	v_div_scale_f32 v3, s[2:3], v16, v16, 1.0
	v_div_scale_f32 v2, vcc, 1.0, v16, 1.0
	s_waitcnt lgkmcnt(0)
	v_mul_f32_e32 v17, v15, v15
	v_fmac_f32_e32 v17, v14, v14
	v_div_scale_f32 v18, s[2:3], v17, v17, 1.0
	v_div_scale_f32 v20, s[2:3], 1.0, v17, 1.0
	v_rcp_f32_e32 v19, v3
	v_fma_f32 v21, -v3, v19, 1.0
	v_fmac_f32_e32 v19, v21, v19
	v_mul_f32_e32 v21, v2, v19
	v_fma_f32 v22, -v3, v21, v2
	v_fmac_f32_e32 v21, v22, v19
	v_fma_f32 v2, -v3, v21, v2
	v_rcp_f32_e32 v3, v18
	v_div_fmas_f32 v19, v2, v19, v21
	s_mov_b64 vcc, s[2:3]
	v_fma_f32 v2, -v18, v3, 1.0
	v_fmac_f32_e32 v3, v2, v3
	v_mul_f32_e32 v2, v20, v3
	v_fma_f32 v21, -v18, v2, v20
	v_fmac_f32_e32 v2, v21, v3
	v_fma_f32 v18, -v18, v2, v20
	v_div_fmas_f32 v18, v18, v3, v2
	ds_read_b64 v[2:3], v5
	ds_read_b64 v[20:21], v6
	;; [unrolled: 1-line block ×3, first 2 shown]
	ds_read_b64 v[24:25], v5 offset:2048
	v_div_fixup_f32 v16, v19, v16, 1.0
	s_waitcnt lgkmcnt(3)
	v_mul_f32_e32 v19, v11, v3
	v_fmac_f32_e32 v19, v2, v10
	v_mul_f32_e64 v2, v11, -v2
	v_fmac_f32_e32 v2, v3, v10
	v_mul_f32_e32 v27, v16, v19
	v_mul_f32_e32 v28, v2, v16
	s_waitcnt lgkmcnt(2)
	v_mul_f32_e32 v3, v15, v21
	v_fmac_f32_e32 v3, v20, v14
	v_div_fixup_f32 v2, v18, v17, 1.0
	ds_read2st64_b64 v[16:19], v4 offset0:2 offset1:4
	v_mul_f32_e32 v4, v2, v3
	v_mul_f32_e64 v3, v15, -v20
	v_fmac_f32_e32 v3, v21, v14
	v_mul_f32_e32 v20, v3, v2
	s_waitcnt lgkmcnt(0)
	v_mul_f32_e64 v2, v28, -v17
	v_mul_f32_e32 v3, v28, v16
	v_fmac_f32_e32 v2, v16, v27
	v_fmac_f32_e32 v3, v17, v27
	v_mul_f32_e64 v10, v20, -v13
	v_mul_f32_e32 v11, v20, v12
	v_sub_f32_e32 v2, v22, v2
	v_sub_f32_e32 v3, v23, v3
	v_fmac_f32_e32 v10, v12, v4
	v_fmac_f32_e32 v11, v13, v4
	v_sub_f32_e32 v2, v2, v10
	v_sub_f32_e32 v3, v3, v11
	ds_read2st64_b64 v[10:13], v26 offset0:2 offset1:4
	v_mul_f32_e64 v14, v28, -v19
	v_fmac_f32_e32 v14, v18, v27
	v_mul_f32_e32 v15, v28, v18
	v_sub_f32_e32 v14, v24, v14
	s_waitcnt lgkmcnt(0)
	v_mul_f32_e64 v16, v20, -v13
	v_fmac_f32_e32 v16, v12, v4
	v_fmac_f32_e32 v15, v19, v27
	v_mul_f32_e32 v17, v20, v12
	v_sub_f32_e32 v12, v14, v16
	v_mul_f32_e32 v14, v28, v9
	v_sub_f32_e32 v15, v25, v15
	v_fmac_f32_e32 v17, v13, v4
	v_fma_f32 v14, -v8, v27, v14
	v_mul_f32_e64 v8, v28, -v8
	v_sub_f32_e32 v13, v15, v17
	v_fma_f32 v15, -v9, v27, v8
	v_mul_f32_e32 v8, v20, v11
	v_mul_f32_e64 v9, v20, -v10
	v_fma_f32 v8, -v10, v4, v8
	v_fma_f32 v9, -v11, v4, v9
	; wave barrier
	ds_write_b64 v7, v[2:3]
	ds_write_b64 v5, v[12:13] offset:2048
	ds_write_b64 v5, v[14:15]
	ds_write_b64 v6, v[8:9]
	v_sub_u32_e64 v2, v0, 16 clamp
	v_lshlrev_b32_e32 v4, 3, v2
	s_waitcnt lgkmcnt(0)
	; wave barrier
	ds_read2st64_b64 v[8:11], v4 offset1:1
	v_add_u32_e32 v2, 16, v0
	v_min_i32_e32 v2, s4, v2
	v_lshlrev_b32_e32 v26, 3, v2
	ds_read2st64_b64 v[12:15], v26 offset1:1
	s_waitcnt lgkmcnt(1)
	v_mul_f32_e32 v16, v11, v11
	v_fmac_f32_e32 v16, v10, v10
	v_div_scale_f32 v3, s[2:3], v16, v16, 1.0
	v_div_scale_f32 v2, vcc, 1.0, v16, 1.0
	s_waitcnt lgkmcnt(0)
	v_mul_f32_e32 v17, v15, v15
	v_fmac_f32_e32 v17, v14, v14
	v_div_scale_f32 v18, s[2:3], v17, v17, 1.0
	v_div_scale_f32 v20, s[2:3], 1.0, v17, 1.0
	v_rcp_f32_e32 v19, v3
	v_fma_f32 v21, -v3, v19, 1.0
	v_fmac_f32_e32 v19, v21, v19
	v_mul_f32_e32 v21, v2, v19
	v_fma_f32 v22, -v3, v21, v2
	v_fmac_f32_e32 v21, v22, v19
	v_fma_f32 v2, -v3, v21, v2
	v_rcp_f32_e32 v3, v18
	v_div_fmas_f32 v19, v2, v19, v21
	s_mov_b64 vcc, s[2:3]
	v_fma_f32 v2, -v18, v3, 1.0
	v_fmac_f32_e32 v3, v2, v3
	v_mul_f32_e32 v2, v20, v3
	v_fma_f32 v21, -v18, v2, v20
	v_fmac_f32_e32 v2, v21, v3
	v_fma_f32 v18, -v18, v2, v20
	v_div_fmas_f32 v18, v18, v3, v2
	ds_read_b64 v[2:3], v5
	ds_read_b64 v[20:21], v6
	;; [unrolled: 1-line block ×3, first 2 shown]
	ds_read_b64 v[24:25], v5 offset:2048
	v_cmp_gt_u32_e32 vcc, 32, v0
	v_div_fixup_f32 v16, v19, v16, 1.0
	s_waitcnt lgkmcnt(3)
	v_mul_f32_e32 v19, v11, v3
	v_fmac_f32_e32 v19, v2, v10
	v_mul_f32_e64 v2, v11, -v2
	v_fmac_f32_e32 v2, v3, v10
	v_mul_f32_e32 v27, v16, v19
	v_mul_f32_e32 v28, v2, v16
	s_waitcnt lgkmcnt(2)
	v_mul_f32_e32 v3, v15, v21
	v_fmac_f32_e32 v3, v20, v14
	v_div_fixup_f32 v2, v18, v17, 1.0
	ds_read2st64_b64 v[16:19], v4 offset0:2 offset1:4
	v_mul_f32_e32 v4, v2, v3
	v_mul_f32_e64 v3, v15, -v20
	v_fmac_f32_e32 v3, v21, v14
	v_mul_f32_e32 v20, v3, v2
	s_waitcnt lgkmcnt(0)
	v_mul_f32_e64 v2, v28, -v17
	v_mul_f32_e32 v3, v28, v16
	v_fmac_f32_e32 v2, v16, v27
	v_fmac_f32_e32 v3, v17, v27
	v_mul_f32_e64 v10, v20, -v13
	v_mul_f32_e32 v11, v20, v12
	v_sub_f32_e32 v2, v22, v2
	v_sub_f32_e32 v3, v23, v3
	v_fmac_f32_e32 v10, v12, v4
	v_fmac_f32_e32 v11, v13, v4
	v_sub_f32_e32 v2, v2, v10
	v_sub_f32_e32 v3, v3, v11
	ds_read2st64_b64 v[10:13], v26 offset0:2 offset1:4
	v_mul_f32_e64 v14, v28, -v19
	v_fmac_f32_e32 v14, v18, v27
	v_mul_f32_e32 v15, v28, v18
	v_sub_f32_e32 v14, v24, v14
	s_waitcnt lgkmcnt(0)
	v_mul_f32_e64 v16, v20, -v13
	v_fmac_f32_e32 v16, v12, v4
	v_fmac_f32_e32 v15, v19, v27
	v_mul_f32_e32 v17, v20, v12
	v_sub_f32_e32 v12, v14, v16
	v_mul_f32_e32 v14, v28, v9
	v_sub_f32_e32 v15, v25, v15
	v_fmac_f32_e32 v17, v13, v4
	v_fma_f32 v14, -v8, v27, v14
	v_mul_f32_e64 v8, v28, -v8
	v_sub_f32_e32 v13, v15, v17
	v_fma_f32 v15, -v9, v27, v8
	v_mul_f32_e32 v8, v20, v11
	v_mul_f32_e64 v9, v20, -v10
	v_fma_f32 v8, -v10, v4, v8
	v_fma_f32 v9, -v11, v4, v9
	; wave barrier
	ds_write_b64 v7, v[2:3]
	ds_write_b64 v5, v[12:13] offset:2048
	ds_write_b64 v5, v[14:15]
	ds_write_b64 v6, v[8:9]
	s_waitcnt lgkmcnt(0)
	; wave barrier
	s_and_saveexec_b64 s[2:3], vcc
	s_cbranch_execz .LBB63_14
; %bb.9:
	v_or_b32_e32 v4, 32, v0
	v_or_b32_e32 v8, 0x800, v5
	v_cmp_le_i32_e32 vcc, s7, v4
                                        ; implicit-def: $vgpr3
	s_and_saveexec_b64 s[4:5], vcc
	s_xor_b64 s[4:5], exec, s[4:5]
	s_cbranch_execz .LBB63_11
; %bb.10:
	ds_read_b64 v[2:3], v7
	s_waitcnt lgkmcnt(0)
	v_mul_f32_e32 v4, v3, v3
	v_fmac_f32_e32 v4, v2, v2
	v_div_scale_f32 v6, s[6:7], v4, v4, 1.0
	v_div_scale_f32 v7, vcc, 1.0, v4, 1.0
	v_rcp_f32_e32 v9, v6
	v_fma_f32 v10, -v6, v9, 1.0
	v_fmac_f32_e32 v9, v10, v9
	v_mul_f32_e32 v10, v7, v9
	v_fma_f32 v11, -v6, v10, v7
	v_fmac_f32_e32 v10, v11, v9
	v_fma_f32 v6, -v6, v10, v7
	v_div_fmas_f32 v9, v6, v9, v10
	ds_read_b64 v[6:7], v8
	s_waitcnt lgkmcnt(0)
	v_mul_f32_e32 v8, v3, v7
	v_mul_f32_e64 v3, v3, -v6
	v_fmac_f32_e32 v8, v6, v2
	v_fmac_f32_e32 v3, v7, v2
                                        ; implicit-def: $vgpr7
                                        ; implicit-def: $vgpr6
	v_div_fixup_f32 v4, v9, v4, 1.0
	v_mul_f32_e32 v2, v4, v8
	v_mul_f32_e32 v3, v3, v4
                                        ; implicit-def: $vgpr8
                                        ; implicit-def: $vgpr4
.LBB63_11:
	s_andn2_saveexec_b64 s[4:5], s[4:5]
	s_cbranch_execz .LBB63_13
; %bb.12:
	ds_read2_b64 v[9:12], v7 offset1:32
	ds_read_b64 v[2:3], v6
	ds_read_b64 v[6:7], v5 offset:256
	s_waitcnt lgkmcnt(2)
	v_mul_f32_e32 v13, v10, v11
	v_mul_f32_e64 v0, v10, -v12
	s_waitcnt lgkmcnt(0)
	v_mul_f32_e32 v15, v7, v2
	v_fmac_f32_e32 v13, v12, v9
	v_mul_f32_e64 v14, v7, -v3
	v_fmac_f32_e32 v15, v3, v6
	v_fmac_f32_e32 v0, v11, v9
	;; [unrolled: 1-line block ×3, first 2 shown]
	v_sub_f32_e32 v17, v13, v15
	v_sub_f32_e32 v0, v0, v14
	v_mul_f32_e32 v18, v17, v17
	v_fmac_f32_e32 v18, v0, v0
	v_div_scale_f32 v19, s[6:7], v18, v18, 1.0
	v_div_scale_f32 v20, vcc, 1.0, v18, 1.0
	ds_read2_b64 v[13:16], v8 offset1:32
	s_waitcnt lgkmcnt(0)
	v_mul_f32_e64 v8, v14, -v12
	v_mul_f32_e32 v21, v14, v11
	v_mul_f32_e64 v23, v16, -v3
	v_mul_f32_e32 v24, v16, v2
	v_fmac_f32_e32 v8, v11, v13
	v_fmac_f32_e32 v21, v12, v13
	;; [unrolled: 1-line block ×3, first 2 shown]
	v_rcp_f32_e32 v22, v19
	v_fmac_f32_e32 v24, v3, v15
	v_fma_f32 v2, 0, v17, v0
	v_fma_f32 v0, v0, 0, -v17
	v_fma_f32 v26, -v19, v22, 1.0
	v_fmac_f32_e32 v22, v26, v22
	v_mul_f32_e32 v26, v20, v22
	v_fma_f32 v27, -v19, v26, v20
	v_fmac_f32_e32 v26, v27, v22
	v_fma_f32 v19, -v19, v26, v20
	v_div_fmas_f32 v19, v19, v22, v26
	v_mul_f32_e64 v20, v7, -v14
	v_mul_f32_e32 v7, v7, v13
	v_mul_f32_e64 v25, v10, -v16
	v_mul_f32_e32 v10, v10, v15
	v_fmac_f32_e32 v20, v13, v6
	v_fmac_f32_e32 v7, v14, v6
	v_sub_f32_e32 v6, v8, v23
	v_sub_f32_e32 v8, v21, v24
	v_fmac_f32_e32 v25, v15, v9
	v_fmac_f32_e32 v10, v16, v9
	v_div_fixup_f32 v3, v19, v18, 1.0
	v_mul_f32_e32 v0, v0, v3
	v_mul_f32_e32 v9, v2, v3
	v_mul_f32_e64 v2, v0, -v8
	v_mul_f32_e32 v3, v0, v6
	v_fmac_f32_e32 v2, v6, v9
	v_fmac_f32_e32 v3, v8, v9
	v_sub_f32_e32 v6, v10, v7
	ds_write_b64 v5, v[2:3] offset:1536
	v_sub_f32_e32 v3, v25, v20
	v_mul_f32_e64 v2, v0, -v6
	v_fmac_f32_e32 v2, v3, v9
	v_mul_f32_e32 v3, v0, v3
	v_fmac_f32_e32 v3, v6, v9
	v_mov_b32_e32 v0, v4
.LBB63_13:
	s_or_b64 exec, exec, s[4:5]
	v_lshlrev_b32_e32 v0, 3, v0
	ds_write_b64 v0, v[2:3] offset:1536
.LBB63_14:
	s_or_b64 exec, exec, s[2:3]
	s_waitcnt lgkmcnt(0)
	; wave barrier
	s_and_saveexec_b64 s[2:3], s[0:1]
	s_cbranch_execz .LBB63_16
; %bb.15:
	v_mov_b32_e32 v2, 0
	v_lshlrev_b64 v[0:1], 3, v[1:2]
	ds_read_b64 v[2:3], v5 offset:1536
	v_mov_b32_e32 v4, s9
	v_add_co_u32_e32 v0, vcc, s8, v0
	v_addc_co_u32_e32 v1, vcc, v4, v1, vcc
	s_waitcnt lgkmcnt(0)
	global_store_dwordx2 v[0:1], v[2:3], off
.LBB63_16:
	s_endpgm
	.section	.rodata,"a",@progbits
	.p2align	6, 0x0
	.amdhsa_kernel _ZN9rocsparseL30gtsv_nopivot_pcr_shared_kernelILj64E21rocsparse_complex_numIfEEEviiiPKT0_S5_S5_PS3_
		.amdhsa_group_segment_fixed_size 2560
		.amdhsa_private_segment_fixed_size 0
		.amdhsa_kernarg_size 48
		.amdhsa_user_sgpr_count 6
		.amdhsa_user_sgpr_private_segment_buffer 1
		.amdhsa_user_sgpr_dispatch_ptr 0
		.amdhsa_user_sgpr_queue_ptr 0
		.amdhsa_user_sgpr_kernarg_segment_ptr 1
		.amdhsa_user_sgpr_dispatch_id 0
		.amdhsa_user_sgpr_flat_scratch_init 0
		.amdhsa_user_sgpr_private_segment_size 0
		.amdhsa_uses_dynamic_stack 0
		.amdhsa_system_sgpr_private_segment_wavefront_offset 0
		.amdhsa_system_sgpr_workgroup_id_x 1
		.amdhsa_system_sgpr_workgroup_id_y 0
		.amdhsa_system_sgpr_workgroup_id_z 0
		.amdhsa_system_sgpr_workgroup_info 0
		.amdhsa_system_vgpr_workitem_id 0
		.amdhsa_next_free_vgpr 33
		.amdhsa_next_free_sgpr 77
		.amdhsa_reserve_vcc 1
		.amdhsa_reserve_flat_scratch 0
		.amdhsa_float_round_mode_32 0
		.amdhsa_float_round_mode_16_64 0
		.amdhsa_float_denorm_mode_32 3
		.amdhsa_float_denorm_mode_16_64 3
		.amdhsa_dx10_clamp 1
		.amdhsa_ieee_mode 1
		.amdhsa_fp16_overflow 0
		.amdhsa_exception_fp_ieee_invalid_op 0
		.amdhsa_exception_fp_denorm_src 0
		.amdhsa_exception_fp_ieee_div_zero 0
		.amdhsa_exception_fp_ieee_overflow 0
		.amdhsa_exception_fp_ieee_underflow 0
		.amdhsa_exception_fp_ieee_inexact 0
		.amdhsa_exception_int_div_zero 0
	.end_amdhsa_kernel
	.section	.text._ZN9rocsparseL30gtsv_nopivot_pcr_shared_kernelILj64E21rocsparse_complex_numIfEEEviiiPKT0_S5_S5_PS3_,"axG",@progbits,_ZN9rocsparseL30gtsv_nopivot_pcr_shared_kernelILj64E21rocsparse_complex_numIfEEEviiiPKT0_S5_S5_PS3_,comdat
.Lfunc_end63:
	.size	_ZN9rocsparseL30gtsv_nopivot_pcr_shared_kernelILj64E21rocsparse_complex_numIfEEEviiiPKT0_S5_S5_PS3_, .Lfunc_end63-_ZN9rocsparseL30gtsv_nopivot_pcr_shared_kernelILj64E21rocsparse_complex_numIfEEEviiiPKT0_S5_S5_PS3_
                                        ; -- End function
	.set _ZN9rocsparseL30gtsv_nopivot_pcr_shared_kernelILj64E21rocsparse_complex_numIfEEEviiiPKT0_S5_S5_PS3_.num_vgpr, 29
	.set _ZN9rocsparseL30gtsv_nopivot_pcr_shared_kernelILj64E21rocsparse_complex_numIfEEEviiiPKT0_S5_S5_PS3_.num_agpr, 0
	.set _ZN9rocsparseL30gtsv_nopivot_pcr_shared_kernelILj64E21rocsparse_complex_numIfEEEviiiPKT0_S5_S5_PS3_.numbered_sgpr, 12
	.set _ZN9rocsparseL30gtsv_nopivot_pcr_shared_kernelILj64E21rocsparse_complex_numIfEEEviiiPKT0_S5_S5_PS3_.num_named_barrier, 0
	.set _ZN9rocsparseL30gtsv_nopivot_pcr_shared_kernelILj64E21rocsparse_complex_numIfEEEviiiPKT0_S5_S5_PS3_.private_seg_size, 0
	.set _ZN9rocsparseL30gtsv_nopivot_pcr_shared_kernelILj64E21rocsparse_complex_numIfEEEviiiPKT0_S5_S5_PS3_.uses_vcc, 1
	.set _ZN9rocsparseL30gtsv_nopivot_pcr_shared_kernelILj64E21rocsparse_complex_numIfEEEviiiPKT0_S5_S5_PS3_.uses_flat_scratch, 0
	.set _ZN9rocsparseL30gtsv_nopivot_pcr_shared_kernelILj64E21rocsparse_complex_numIfEEEviiiPKT0_S5_S5_PS3_.has_dyn_sized_stack, 0
	.set _ZN9rocsparseL30gtsv_nopivot_pcr_shared_kernelILj64E21rocsparse_complex_numIfEEEviiiPKT0_S5_S5_PS3_.has_recursion, 0
	.set _ZN9rocsparseL30gtsv_nopivot_pcr_shared_kernelILj64E21rocsparse_complex_numIfEEEviiiPKT0_S5_S5_PS3_.has_indirect_call, 0
	.section	.AMDGPU.csdata,"",@progbits
; Kernel info:
; codeLenInByte = 3580
; TotalNumSgprs: 16
; NumVgprs: 29
; ScratchSize: 0
; MemoryBound: 0
; FloatMode: 240
; IeeeMode: 1
; LDSByteSize: 2560 bytes/workgroup (compile time only)
; SGPRBlocks: 10
; VGPRBlocks: 8
; NumSGPRsForWavesPerEU: 81
; NumVGPRsForWavesPerEU: 33
; Occupancy: 7
; WaveLimiterHint : 0
; COMPUTE_PGM_RSRC2:SCRATCH_EN: 0
; COMPUTE_PGM_RSRC2:USER_SGPR: 6
; COMPUTE_PGM_RSRC2:TRAP_HANDLER: 0
; COMPUTE_PGM_RSRC2:TGID_X_EN: 1
; COMPUTE_PGM_RSRC2:TGID_Y_EN: 0
; COMPUTE_PGM_RSRC2:TGID_Z_EN: 0
; COMPUTE_PGM_RSRC2:TIDIG_COMP_CNT: 0
	.section	.text._ZN9rocsparseL30gtsv_nopivot_pcr_shared_kernelILj128E21rocsparse_complex_numIfEEEviiiPKT0_S5_S5_PS3_,"axG",@progbits,_ZN9rocsparseL30gtsv_nopivot_pcr_shared_kernelILj128E21rocsparse_complex_numIfEEEviiiPKT0_S5_S5_PS3_,comdat
	.globl	_ZN9rocsparseL30gtsv_nopivot_pcr_shared_kernelILj128E21rocsparse_complex_numIfEEEviiiPKT0_S5_S5_PS3_ ; -- Begin function _ZN9rocsparseL30gtsv_nopivot_pcr_shared_kernelILj128E21rocsparse_complex_numIfEEEviiiPKT0_S5_S5_PS3_
	.p2align	8
	.type	_ZN9rocsparseL30gtsv_nopivot_pcr_shared_kernelILj128E21rocsparse_complex_numIfEEEviiiPKT0_S5_S5_PS3_,@function
_ZN9rocsparseL30gtsv_nopivot_pcr_shared_kernelILj128E21rocsparse_complex_numIfEEEviiiPKT0_S5_S5_PS3_: ; @_ZN9rocsparseL30gtsv_nopivot_pcr_shared_kernelILj128E21rocsparse_complex_numIfEEEviiiPKT0_S5_S5_PS3_
; %bb.0:
	s_load_dword s7, s[4:5], 0x0
	v_mov_b32_e32 v1, 0
	v_lshlrev_b32_e32 v5, 3, v0
	v_mov_b32_e32 v2, 0
	v_mov_b32_e32 v3, 0
	s_waitcnt lgkmcnt(0)
	v_cmp_gt_i32_e64 s[0:1], s7, v0
	s_and_saveexec_b64 s[2:3], s[0:1]
	s_cbranch_execz .LBB64_2
; %bb.1:
	s_load_dwordx2 s[8:9], s[4:5], 0x10
	s_waitcnt lgkmcnt(0)
	global_load_dwordx2 v[2:3], v5, s[8:9]
.LBB64_2:
	s_or_b64 exec, exec, s[2:3]
	s_waitcnt vmcnt(0)
	ds_write_b64 v5, v[2:3]
	v_mov_b32_e32 v2, 0
	s_and_saveexec_b64 s[2:3], s[0:1]
	s_cbranch_execz .LBB64_4
; %bb.3:
	s_load_dwordx2 s[8:9], s[4:5], 0x18
	s_waitcnt lgkmcnt(0)
	global_load_dwordx2 v[1:2], v5, s[8:9]
.LBB64_4:
	s_or_b64 exec, exec, s[2:3]
	s_load_dwordx2 s[8:9], s[4:5], 0x28
	s_waitcnt vmcnt(0)
	ds_write_b64 v5, v[1:2] offset:1024
	v_mov_b32_e32 v2, 0
	v_mov_b32_e32 v3, 0
	v_mov_b32_e32 v4, 0
	s_and_saveexec_b64 s[2:3], s[0:1]
	s_cbranch_execz .LBB64_6
; %bb.5:
	s_load_dwordx2 s[10:11], s[4:5], 0x20
	s_waitcnt lgkmcnt(0)
	global_load_dwordx2 v[3:4], v5, s[10:11]
.LBB64_6:
	s_or_b64 exec, exec, s[2:3]
	s_load_dword s2, s[4:5], 0x8
	v_or_b32_e32 v7, 0x400, v5
	v_or_b32_e32 v6, 0x800, v5
	s_waitcnt vmcnt(0)
	ds_write_b64 v5, v[3:4] offset:2048
	v_mov_b32_e32 v3, 0
	s_waitcnt lgkmcnt(0)
	s_mul_i32 s2, s2, s6
	v_add_u32_e32 v1, s2, v0
	s_and_saveexec_b64 s[2:3], s[0:1]
	s_cbranch_execz .LBB64_8
; %bb.7:
	v_mov_b32_e32 v2, 0
	v_lshlrev_b64 v[2:3], 3, v[1:2]
	v_mov_b32_e32 v4, s9
	v_add_co_u32_e32 v2, vcc, s8, v2
	v_addc_co_u32_e32 v3, vcc, v4, v3, vcc
	global_load_dwordx2 v[2:3], v[2:3], off
.LBB64_8:
	s_or_b64 exec, exec, s[2:3]
	s_waitcnt vmcnt(0)
	ds_write_b64 v5, v[2:3] offset:4096
	v_sub_u32_e64 v2, v0, 1 clamp
	s_add_i32 s4, s7, -1
	v_lshlrev_b32_e32 v4, 3, v2
	v_add_u32_e32 v2, 1, v0
	s_waitcnt lgkmcnt(0)
	s_barrier
	ds_read2st64_b64 v[8:11], v4 offset1:2
	v_min_i32_e32 v2, s4, v2
	v_lshlrev_b32_e32 v26, 3, v2
	ds_read2st64_b64 v[12:15], v26 offset1:2
	s_waitcnt lgkmcnt(1)
	v_mul_f32_e32 v16, v11, v11
	v_fmac_f32_e32 v16, v10, v10
	v_div_scale_f32 v2, s[2:3], v16, v16, 1.0
	s_waitcnt lgkmcnt(0)
	v_mul_f32_e32 v17, v15, v15
	v_fmac_f32_e32 v17, v14, v14
	v_div_scale_f32 v3, s[2:3], v17, v17, 1.0
	v_div_scale_f32 v18, vcc, 1.0, v16, 1.0
	v_div_scale_f32 v19, s[2:3], 1.0, v17, 1.0
	v_rcp_f32_e32 v20, v2
	v_rcp_f32_e32 v21, v3
	v_fma_f32 v22, -v2, v20, 1.0
	v_fmac_f32_e32 v20, v22, v20
	v_mul_f32_e32 v23, v18, v20
	v_fma_f32 v22, -v3, v21, 1.0
	v_fmac_f32_e32 v21, v22, v21
	v_fma_f32 v22, -v2, v23, v18
	v_fmac_f32_e32 v23, v22, v20
	v_fma_f32 v2, -v2, v23, v18
	v_div_fmas_f32 v18, v2, v20, v23
	v_mul_f32_e32 v2, v19, v21
	v_fma_f32 v20, -v3, v2, v19
	v_fmac_f32_e32 v2, v20, v21
	v_fma_f32 v3, -v3, v2, v19
	s_mov_b64 vcc, s[2:3]
	v_div_fmas_f32 v19, v3, v21, v2
	ds_read_b64 v[2:3], v5
	ds_read_b64 v[20:21], v6
	;; [unrolled: 1-line block ×3, first 2 shown]
	ds_read_b64 v[24:25], v5 offset:4096
	s_waitcnt lgkmcnt(3)
	v_mul_f32_e32 v27, v11, v3
	v_mul_f32_e64 v11, v11, -v2
	v_fmac_f32_e32 v27, v2, v10
	v_fmac_f32_e32 v11, v3, v10
	s_waitcnt lgkmcnt(2)
	v_mul_f32_e32 v3, v15, v21
	v_fmac_f32_e32 v3, v20, v14
	v_div_fixup_f32 v2, v18, v16, 1.0
	v_mul_f32_e32 v27, v2, v27
	v_mul_f32_e32 v28, v11, v2
	v_div_fixup_f32 v2, v19, v17, 1.0
	ds_read2st64_b64 v[16:19], v4 offset0:4 offset1:8
	v_mul_f32_e32 v4, v2, v3
	v_mul_f32_e64 v3, v15, -v20
	v_fmac_f32_e32 v3, v21, v14
	v_mul_f32_e32 v20, v3, v2
	s_waitcnt lgkmcnt(0)
	v_mul_f32_e64 v2, v28, -v17
	v_mul_f32_e32 v3, v28, v16
	v_fmac_f32_e32 v2, v16, v27
	v_fmac_f32_e32 v3, v17, v27
	v_mul_f32_e64 v10, v20, -v13
	v_mul_f32_e32 v11, v20, v12
	v_sub_f32_e32 v2, v22, v2
	v_sub_f32_e32 v3, v23, v3
	v_fmac_f32_e32 v10, v12, v4
	v_fmac_f32_e32 v11, v13, v4
	v_sub_f32_e32 v2, v2, v10
	v_sub_f32_e32 v3, v3, v11
	ds_read2st64_b64 v[10:13], v26 offset0:4 offset1:8
	v_mul_f32_e64 v14, v28, -v19
	v_fmac_f32_e32 v14, v18, v27
	v_mul_f32_e32 v15, v28, v18
	v_sub_f32_e32 v14, v24, v14
	s_waitcnt lgkmcnt(0)
	v_mul_f32_e64 v16, v20, -v13
	v_fmac_f32_e32 v16, v12, v4
	v_fmac_f32_e32 v15, v19, v27
	v_mul_f32_e32 v17, v20, v12
	v_sub_f32_e32 v12, v14, v16
	v_mul_f32_e32 v14, v28, v9
	v_sub_f32_e32 v15, v25, v15
	v_fmac_f32_e32 v17, v13, v4
	v_fma_f32 v14, -v8, v27, v14
	v_mul_f32_e64 v8, v28, -v8
	v_sub_f32_e32 v13, v15, v17
	v_fma_f32 v15, -v9, v27, v8
	v_mul_f32_e32 v8, v20, v11
	v_mul_f32_e64 v9, v20, -v10
	v_fma_f32 v8, -v10, v4, v8
	v_fma_f32 v9, -v11, v4, v9
	s_barrier
	ds_write_b64 v7, v[2:3]
	ds_write_b64 v5, v[12:13] offset:4096
	ds_write_b64 v5, v[14:15]
	ds_write_b64 v6, v[8:9]
	v_sub_u32_e64 v2, v0, 2 clamp
	v_lshlrev_b32_e32 v4, 3, v2
	s_waitcnt lgkmcnt(0)
	s_barrier
	ds_read2st64_b64 v[8:11], v4 offset1:2
	v_add_u32_e32 v2, 2, v0
	v_min_i32_e32 v2, s4, v2
	v_lshlrev_b32_e32 v26, 3, v2
	ds_read2st64_b64 v[12:15], v26 offset1:2
	s_waitcnt lgkmcnt(1)
	v_mul_f32_e32 v16, v11, v11
	v_fmac_f32_e32 v16, v10, v10
	v_div_scale_f32 v3, s[2:3], v16, v16, 1.0
	v_div_scale_f32 v2, vcc, 1.0, v16, 1.0
	s_waitcnt lgkmcnt(0)
	v_mul_f32_e32 v17, v15, v15
	v_fmac_f32_e32 v17, v14, v14
	v_div_scale_f32 v18, s[2:3], v17, v17, 1.0
	v_div_scale_f32 v20, s[2:3], 1.0, v17, 1.0
	v_rcp_f32_e32 v19, v3
	v_fma_f32 v21, -v3, v19, 1.0
	v_fmac_f32_e32 v19, v21, v19
	v_mul_f32_e32 v21, v2, v19
	v_fma_f32 v22, -v3, v21, v2
	v_fmac_f32_e32 v21, v22, v19
	v_fma_f32 v2, -v3, v21, v2
	v_rcp_f32_e32 v3, v18
	v_div_fmas_f32 v19, v2, v19, v21
	s_mov_b64 vcc, s[2:3]
	v_fma_f32 v2, -v18, v3, 1.0
	v_fmac_f32_e32 v3, v2, v3
	v_mul_f32_e32 v2, v20, v3
	v_fma_f32 v21, -v18, v2, v20
	v_fmac_f32_e32 v2, v21, v3
	v_fma_f32 v18, -v18, v2, v20
	v_div_fmas_f32 v18, v18, v3, v2
	ds_read_b64 v[2:3], v5
	ds_read_b64 v[20:21], v6
	;; [unrolled: 1-line block ×3, first 2 shown]
	ds_read_b64 v[24:25], v5 offset:4096
	v_div_fixup_f32 v16, v19, v16, 1.0
	s_waitcnt lgkmcnt(3)
	v_mul_f32_e32 v19, v11, v3
	v_fmac_f32_e32 v19, v2, v10
	v_mul_f32_e64 v2, v11, -v2
	v_fmac_f32_e32 v2, v3, v10
	v_mul_f32_e32 v27, v16, v19
	v_mul_f32_e32 v28, v2, v16
	s_waitcnt lgkmcnt(2)
	v_mul_f32_e32 v3, v15, v21
	v_fmac_f32_e32 v3, v20, v14
	v_div_fixup_f32 v2, v18, v17, 1.0
	ds_read2st64_b64 v[16:19], v4 offset0:4 offset1:8
	v_mul_f32_e32 v4, v2, v3
	v_mul_f32_e64 v3, v15, -v20
	v_fmac_f32_e32 v3, v21, v14
	v_mul_f32_e32 v20, v3, v2
	s_waitcnt lgkmcnt(0)
	v_mul_f32_e64 v2, v28, -v17
	v_mul_f32_e32 v3, v28, v16
	v_fmac_f32_e32 v2, v16, v27
	v_fmac_f32_e32 v3, v17, v27
	v_mul_f32_e64 v10, v20, -v13
	v_mul_f32_e32 v11, v20, v12
	v_sub_f32_e32 v2, v22, v2
	v_sub_f32_e32 v3, v23, v3
	v_fmac_f32_e32 v10, v12, v4
	v_fmac_f32_e32 v11, v13, v4
	v_sub_f32_e32 v2, v2, v10
	v_sub_f32_e32 v3, v3, v11
	ds_read2st64_b64 v[10:13], v26 offset0:4 offset1:8
	v_mul_f32_e64 v14, v28, -v19
	v_fmac_f32_e32 v14, v18, v27
	v_mul_f32_e32 v15, v28, v18
	v_sub_f32_e32 v14, v24, v14
	s_waitcnt lgkmcnt(0)
	v_mul_f32_e64 v16, v20, -v13
	v_fmac_f32_e32 v16, v12, v4
	v_fmac_f32_e32 v15, v19, v27
	v_mul_f32_e32 v17, v20, v12
	v_sub_f32_e32 v12, v14, v16
	v_mul_f32_e32 v14, v28, v9
	v_sub_f32_e32 v15, v25, v15
	v_fmac_f32_e32 v17, v13, v4
	v_fma_f32 v14, -v8, v27, v14
	v_mul_f32_e64 v8, v28, -v8
	v_sub_f32_e32 v13, v15, v17
	v_fma_f32 v15, -v9, v27, v8
	v_mul_f32_e32 v8, v20, v11
	v_mul_f32_e64 v9, v20, -v10
	v_fma_f32 v8, -v10, v4, v8
	v_fma_f32 v9, -v11, v4, v9
	s_barrier
	ds_write_b64 v7, v[2:3]
	ds_write_b64 v5, v[12:13] offset:4096
	ds_write_b64 v5, v[14:15]
	ds_write_b64 v6, v[8:9]
	v_sub_u32_e64 v2, v0, 4 clamp
	v_lshlrev_b32_e32 v4, 3, v2
	s_waitcnt lgkmcnt(0)
	s_barrier
	ds_read2st64_b64 v[8:11], v4 offset1:2
	v_add_u32_e32 v2, 4, v0
	v_min_i32_e32 v2, s4, v2
	v_lshlrev_b32_e32 v26, 3, v2
	ds_read2st64_b64 v[12:15], v26 offset1:2
	s_waitcnt lgkmcnt(1)
	v_mul_f32_e32 v16, v11, v11
	v_fmac_f32_e32 v16, v10, v10
	v_div_scale_f32 v3, s[2:3], v16, v16, 1.0
	v_div_scale_f32 v2, vcc, 1.0, v16, 1.0
	s_waitcnt lgkmcnt(0)
	v_mul_f32_e32 v17, v15, v15
	v_fmac_f32_e32 v17, v14, v14
	v_div_scale_f32 v18, s[2:3], v17, v17, 1.0
	v_div_scale_f32 v20, s[2:3], 1.0, v17, 1.0
	v_rcp_f32_e32 v19, v3
	v_fma_f32 v21, -v3, v19, 1.0
	v_fmac_f32_e32 v19, v21, v19
	v_mul_f32_e32 v21, v2, v19
	v_fma_f32 v22, -v3, v21, v2
	v_fmac_f32_e32 v21, v22, v19
	v_fma_f32 v2, -v3, v21, v2
	v_rcp_f32_e32 v3, v18
	v_div_fmas_f32 v19, v2, v19, v21
	s_mov_b64 vcc, s[2:3]
	v_fma_f32 v2, -v18, v3, 1.0
	v_fmac_f32_e32 v3, v2, v3
	v_mul_f32_e32 v2, v20, v3
	v_fma_f32 v21, -v18, v2, v20
	v_fmac_f32_e32 v2, v21, v3
	v_fma_f32 v18, -v18, v2, v20
	v_div_fmas_f32 v18, v18, v3, v2
	ds_read_b64 v[2:3], v5
	ds_read_b64 v[20:21], v6
	;; [unrolled: 1-line block ×3, first 2 shown]
	ds_read_b64 v[24:25], v5 offset:4096
	v_div_fixup_f32 v16, v19, v16, 1.0
	s_waitcnt lgkmcnt(3)
	v_mul_f32_e32 v19, v11, v3
	v_fmac_f32_e32 v19, v2, v10
	v_mul_f32_e64 v2, v11, -v2
	v_fmac_f32_e32 v2, v3, v10
	v_mul_f32_e32 v27, v16, v19
	v_mul_f32_e32 v28, v2, v16
	s_waitcnt lgkmcnt(2)
	v_mul_f32_e32 v3, v15, v21
	v_fmac_f32_e32 v3, v20, v14
	v_div_fixup_f32 v2, v18, v17, 1.0
	ds_read2st64_b64 v[16:19], v4 offset0:4 offset1:8
	v_mul_f32_e32 v4, v2, v3
	v_mul_f32_e64 v3, v15, -v20
	v_fmac_f32_e32 v3, v21, v14
	v_mul_f32_e32 v20, v3, v2
	s_waitcnt lgkmcnt(0)
	v_mul_f32_e64 v2, v28, -v17
	v_mul_f32_e32 v3, v28, v16
	v_fmac_f32_e32 v2, v16, v27
	v_fmac_f32_e32 v3, v17, v27
	v_mul_f32_e64 v10, v20, -v13
	v_mul_f32_e32 v11, v20, v12
	v_sub_f32_e32 v2, v22, v2
	v_sub_f32_e32 v3, v23, v3
	v_fmac_f32_e32 v10, v12, v4
	v_fmac_f32_e32 v11, v13, v4
	v_sub_f32_e32 v2, v2, v10
	v_sub_f32_e32 v3, v3, v11
	ds_read2st64_b64 v[10:13], v26 offset0:4 offset1:8
	v_mul_f32_e64 v14, v28, -v19
	v_fmac_f32_e32 v14, v18, v27
	v_mul_f32_e32 v15, v28, v18
	v_sub_f32_e32 v14, v24, v14
	s_waitcnt lgkmcnt(0)
	v_mul_f32_e64 v16, v20, -v13
	v_fmac_f32_e32 v16, v12, v4
	v_fmac_f32_e32 v15, v19, v27
	v_mul_f32_e32 v17, v20, v12
	v_sub_f32_e32 v12, v14, v16
	v_mul_f32_e32 v14, v28, v9
	v_sub_f32_e32 v15, v25, v15
	v_fmac_f32_e32 v17, v13, v4
	v_fma_f32 v14, -v8, v27, v14
	v_mul_f32_e64 v8, v28, -v8
	v_sub_f32_e32 v13, v15, v17
	v_fma_f32 v15, -v9, v27, v8
	v_mul_f32_e32 v8, v20, v11
	v_mul_f32_e64 v9, v20, -v10
	v_fma_f32 v8, -v10, v4, v8
	v_fma_f32 v9, -v11, v4, v9
	s_barrier
	ds_write_b64 v7, v[2:3]
	ds_write_b64 v5, v[12:13] offset:4096
	ds_write_b64 v5, v[14:15]
	ds_write_b64 v6, v[8:9]
	v_sub_u32_e64 v2, v0, 8 clamp
	v_lshlrev_b32_e32 v4, 3, v2
	s_waitcnt lgkmcnt(0)
	s_barrier
	ds_read2st64_b64 v[8:11], v4 offset1:2
	v_add_u32_e32 v2, 8, v0
	v_min_i32_e32 v2, s4, v2
	v_lshlrev_b32_e32 v26, 3, v2
	ds_read2st64_b64 v[12:15], v26 offset1:2
	s_waitcnt lgkmcnt(1)
	v_mul_f32_e32 v16, v11, v11
	v_fmac_f32_e32 v16, v10, v10
	v_div_scale_f32 v3, s[2:3], v16, v16, 1.0
	v_div_scale_f32 v2, vcc, 1.0, v16, 1.0
	s_waitcnt lgkmcnt(0)
	v_mul_f32_e32 v17, v15, v15
	v_fmac_f32_e32 v17, v14, v14
	v_div_scale_f32 v18, s[2:3], v17, v17, 1.0
	v_div_scale_f32 v20, s[2:3], 1.0, v17, 1.0
	v_rcp_f32_e32 v19, v3
	v_fma_f32 v21, -v3, v19, 1.0
	v_fmac_f32_e32 v19, v21, v19
	v_mul_f32_e32 v21, v2, v19
	v_fma_f32 v22, -v3, v21, v2
	v_fmac_f32_e32 v21, v22, v19
	v_fma_f32 v2, -v3, v21, v2
	v_rcp_f32_e32 v3, v18
	v_div_fmas_f32 v19, v2, v19, v21
	s_mov_b64 vcc, s[2:3]
	v_fma_f32 v2, -v18, v3, 1.0
	v_fmac_f32_e32 v3, v2, v3
	v_mul_f32_e32 v2, v20, v3
	v_fma_f32 v21, -v18, v2, v20
	v_fmac_f32_e32 v2, v21, v3
	v_fma_f32 v18, -v18, v2, v20
	v_div_fmas_f32 v18, v18, v3, v2
	ds_read_b64 v[2:3], v5
	ds_read_b64 v[20:21], v6
	;; [unrolled: 1-line block ×3, first 2 shown]
	ds_read_b64 v[24:25], v5 offset:4096
	v_div_fixup_f32 v16, v19, v16, 1.0
	s_waitcnt lgkmcnt(3)
	v_mul_f32_e32 v19, v11, v3
	v_fmac_f32_e32 v19, v2, v10
	v_mul_f32_e64 v2, v11, -v2
	v_fmac_f32_e32 v2, v3, v10
	v_mul_f32_e32 v27, v16, v19
	v_mul_f32_e32 v28, v2, v16
	s_waitcnt lgkmcnt(2)
	v_mul_f32_e32 v3, v15, v21
	v_fmac_f32_e32 v3, v20, v14
	v_div_fixup_f32 v2, v18, v17, 1.0
	ds_read2st64_b64 v[16:19], v4 offset0:4 offset1:8
	v_mul_f32_e32 v4, v2, v3
	v_mul_f32_e64 v3, v15, -v20
	v_fmac_f32_e32 v3, v21, v14
	v_mul_f32_e32 v20, v3, v2
	s_waitcnt lgkmcnt(0)
	v_mul_f32_e64 v2, v28, -v17
	v_mul_f32_e32 v3, v28, v16
	v_fmac_f32_e32 v2, v16, v27
	v_fmac_f32_e32 v3, v17, v27
	v_mul_f32_e64 v10, v20, -v13
	v_mul_f32_e32 v11, v20, v12
	v_sub_f32_e32 v2, v22, v2
	v_sub_f32_e32 v3, v23, v3
	v_fmac_f32_e32 v10, v12, v4
	v_fmac_f32_e32 v11, v13, v4
	v_sub_f32_e32 v2, v2, v10
	v_sub_f32_e32 v3, v3, v11
	ds_read2st64_b64 v[10:13], v26 offset0:4 offset1:8
	v_mul_f32_e64 v14, v28, -v19
	v_fmac_f32_e32 v14, v18, v27
	v_mul_f32_e32 v15, v28, v18
	v_sub_f32_e32 v14, v24, v14
	s_waitcnt lgkmcnt(0)
	v_mul_f32_e64 v16, v20, -v13
	v_fmac_f32_e32 v16, v12, v4
	v_fmac_f32_e32 v15, v19, v27
	v_mul_f32_e32 v17, v20, v12
	v_sub_f32_e32 v12, v14, v16
	v_mul_f32_e32 v14, v28, v9
	v_sub_f32_e32 v15, v25, v15
	v_fmac_f32_e32 v17, v13, v4
	v_fma_f32 v14, -v8, v27, v14
	v_mul_f32_e64 v8, v28, -v8
	v_sub_f32_e32 v13, v15, v17
	v_fma_f32 v15, -v9, v27, v8
	v_mul_f32_e32 v8, v20, v11
	v_mul_f32_e64 v9, v20, -v10
	v_fma_f32 v8, -v10, v4, v8
	v_fma_f32 v9, -v11, v4, v9
	s_barrier
	ds_write_b64 v7, v[2:3]
	ds_write_b64 v5, v[12:13] offset:4096
	ds_write_b64 v5, v[14:15]
	ds_write_b64 v6, v[8:9]
	v_sub_u32_e64 v2, v0, 16 clamp
	v_lshlrev_b32_e32 v4, 3, v2
	s_waitcnt lgkmcnt(0)
	s_barrier
	ds_read2st64_b64 v[8:11], v4 offset1:2
	v_add_u32_e32 v2, 16, v0
	v_min_i32_e32 v2, s4, v2
	v_lshlrev_b32_e32 v26, 3, v2
	ds_read2st64_b64 v[12:15], v26 offset1:2
	s_waitcnt lgkmcnt(1)
	v_mul_f32_e32 v16, v11, v11
	v_fmac_f32_e32 v16, v10, v10
	v_div_scale_f32 v3, s[2:3], v16, v16, 1.0
	v_div_scale_f32 v2, vcc, 1.0, v16, 1.0
	s_waitcnt lgkmcnt(0)
	v_mul_f32_e32 v17, v15, v15
	v_fmac_f32_e32 v17, v14, v14
	v_div_scale_f32 v18, s[2:3], v17, v17, 1.0
	v_div_scale_f32 v20, s[2:3], 1.0, v17, 1.0
	v_rcp_f32_e32 v19, v3
	v_fma_f32 v21, -v3, v19, 1.0
	v_fmac_f32_e32 v19, v21, v19
	v_mul_f32_e32 v21, v2, v19
	v_fma_f32 v22, -v3, v21, v2
	v_fmac_f32_e32 v21, v22, v19
	v_fma_f32 v2, -v3, v21, v2
	v_rcp_f32_e32 v3, v18
	v_div_fmas_f32 v19, v2, v19, v21
	s_mov_b64 vcc, s[2:3]
	v_fma_f32 v2, -v18, v3, 1.0
	v_fmac_f32_e32 v3, v2, v3
	v_mul_f32_e32 v2, v20, v3
	v_fma_f32 v21, -v18, v2, v20
	v_fmac_f32_e32 v2, v21, v3
	v_fma_f32 v18, -v18, v2, v20
	v_div_fmas_f32 v18, v18, v3, v2
	ds_read_b64 v[2:3], v5
	ds_read_b64 v[20:21], v6
	;; [unrolled: 1-line block ×3, first 2 shown]
	ds_read_b64 v[24:25], v5 offset:4096
	v_div_fixup_f32 v16, v19, v16, 1.0
	s_waitcnt lgkmcnt(3)
	v_mul_f32_e32 v19, v11, v3
	v_fmac_f32_e32 v19, v2, v10
	v_mul_f32_e64 v2, v11, -v2
	v_fmac_f32_e32 v2, v3, v10
	v_mul_f32_e32 v27, v16, v19
	v_mul_f32_e32 v28, v2, v16
	s_waitcnt lgkmcnt(2)
	v_mul_f32_e32 v3, v15, v21
	v_fmac_f32_e32 v3, v20, v14
	v_div_fixup_f32 v2, v18, v17, 1.0
	ds_read2st64_b64 v[16:19], v4 offset0:4 offset1:8
	v_mul_f32_e32 v4, v2, v3
	v_mul_f32_e64 v3, v15, -v20
	v_fmac_f32_e32 v3, v21, v14
	v_mul_f32_e32 v20, v3, v2
	s_waitcnt lgkmcnt(0)
	v_mul_f32_e64 v2, v28, -v17
	v_mul_f32_e32 v3, v28, v16
	v_fmac_f32_e32 v2, v16, v27
	v_fmac_f32_e32 v3, v17, v27
	v_mul_f32_e64 v10, v20, -v13
	v_mul_f32_e32 v11, v20, v12
	v_sub_f32_e32 v2, v22, v2
	v_sub_f32_e32 v3, v23, v3
	v_fmac_f32_e32 v10, v12, v4
	v_fmac_f32_e32 v11, v13, v4
	v_sub_f32_e32 v2, v2, v10
	v_sub_f32_e32 v3, v3, v11
	ds_read2st64_b64 v[10:13], v26 offset0:4 offset1:8
	v_mul_f32_e64 v14, v28, -v19
	v_fmac_f32_e32 v14, v18, v27
	v_mul_f32_e32 v15, v28, v18
	v_sub_f32_e32 v14, v24, v14
	s_waitcnt lgkmcnt(0)
	v_mul_f32_e64 v16, v20, -v13
	v_fmac_f32_e32 v16, v12, v4
	v_fmac_f32_e32 v15, v19, v27
	v_mul_f32_e32 v17, v20, v12
	v_sub_f32_e32 v12, v14, v16
	v_mul_f32_e32 v14, v28, v9
	v_sub_f32_e32 v15, v25, v15
	v_fmac_f32_e32 v17, v13, v4
	v_fma_f32 v14, -v8, v27, v14
	v_mul_f32_e64 v8, v28, -v8
	v_sub_f32_e32 v13, v15, v17
	v_fma_f32 v15, -v9, v27, v8
	v_mul_f32_e32 v8, v20, v11
	v_mul_f32_e64 v9, v20, -v10
	v_fma_f32 v8, -v10, v4, v8
	v_fma_f32 v9, -v11, v4, v9
	s_barrier
	ds_write_b64 v7, v[2:3]
	ds_write_b64 v5, v[12:13] offset:4096
	ds_write_b64 v5, v[14:15]
	ds_write_b64 v6, v[8:9]
	v_sub_u32_e64 v2, v0, 32 clamp
	v_lshlrev_b32_e32 v4, 3, v2
	s_waitcnt lgkmcnt(0)
	s_barrier
	ds_read2st64_b64 v[8:11], v4 offset1:2
	v_add_u32_e32 v2, 32, v0
	v_min_i32_e32 v2, s4, v2
	v_lshlrev_b32_e32 v26, 3, v2
	ds_read2st64_b64 v[12:15], v26 offset1:2
	s_waitcnt lgkmcnt(1)
	v_mul_f32_e32 v16, v11, v11
	v_fmac_f32_e32 v16, v10, v10
	v_div_scale_f32 v3, s[2:3], v16, v16, 1.0
	v_div_scale_f32 v2, vcc, 1.0, v16, 1.0
	s_waitcnt lgkmcnt(0)
	v_mul_f32_e32 v17, v15, v15
	v_fmac_f32_e32 v17, v14, v14
	v_div_scale_f32 v18, s[2:3], v17, v17, 1.0
	v_div_scale_f32 v20, s[2:3], 1.0, v17, 1.0
	v_rcp_f32_e32 v19, v3
	v_fma_f32 v21, -v3, v19, 1.0
	v_fmac_f32_e32 v19, v21, v19
	v_mul_f32_e32 v21, v2, v19
	v_fma_f32 v22, -v3, v21, v2
	v_fmac_f32_e32 v21, v22, v19
	v_fma_f32 v2, -v3, v21, v2
	v_rcp_f32_e32 v3, v18
	v_div_fmas_f32 v19, v2, v19, v21
	s_mov_b64 vcc, s[2:3]
	v_fma_f32 v2, -v18, v3, 1.0
	v_fmac_f32_e32 v3, v2, v3
	v_mul_f32_e32 v2, v20, v3
	v_fma_f32 v21, -v18, v2, v20
	v_fmac_f32_e32 v2, v21, v3
	v_fma_f32 v18, -v18, v2, v20
	v_div_fmas_f32 v18, v18, v3, v2
	ds_read_b64 v[2:3], v5
	ds_read_b64 v[20:21], v6
	;; [unrolled: 1-line block ×3, first 2 shown]
	ds_read_b64 v[24:25], v5 offset:4096
	v_cmp_gt_u32_e32 vcc, 64, v0
	v_div_fixup_f32 v16, v19, v16, 1.0
	s_waitcnt lgkmcnt(3)
	v_mul_f32_e32 v19, v11, v3
	v_fmac_f32_e32 v19, v2, v10
	v_mul_f32_e64 v2, v11, -v2
	v_fmac_f32_e32 v2, v3, v10
	v_mul_f32_e32 v27, v16, v19
	v_mul_f32_e32 v28, v2, v16
	s_waitcnt lgkmcnt(2)
	v_mul_f32_e32 v3, v15, v21
	v_fmac_f32_e32 v3, v20, v14
	v_div_fixup_f32 v2, v18, v17, 1.0
	ds_read2st64_b64 v[16:19], v4 offset0:4 offset1:8
	v_mul_f32_e32 v4, v2, v3
	v_mul_f32_e64 v3, v15, -v20
	v_fmac_f32_e32 v3, v21, v14
	v_mul_f32_e32 v20, v3, v2
	s_waitcnt lgkmcnt(0)
	v_mul_f32_e64 v2, v28, -v17
	v_mul_f32_e32 v3, v28, v16
	v_fmac_f32_e32 v2, v16, v27
	v_fmac_f32_e32 v3, v17, v27
	v_mul_f32_e64 v10, v20, -v13
	v_mul_f32_e32 v11, v20, v12
	v_sub_f32_e32 v2, v22, v2
	v_sub_f32_e32 v3, v23, v3
	v_fmac_f32_e32 v10, v12, v4
	v_fmac_f32_e32 v11, v13, v4
	v_sub_f32_e32 v2, v2, v10
	v_sub_f32_e32 v3, v3, v11
	ds_read2st64_b64 v[10:13], v26 offset0:4 offset1:8
	v_mul_f32_e64 v14, v28, -v19
	v_fmac_f32_e32 v14, v18, v27
	v_mul_f32_e32 v15, v28, v18
	v_sub_f32_e32 v14, v24, v14
	s_waitcnt lgkmcnt(0)
	v_mul_f32_e64 v16, v20, -v13
	v_fmac_f32_e32 v16, v12, v4
	v_fmac_f32_e32 v15, v19, v27
	v_mul_f32_e32 v17, v20, v12
	v_sub_f32_e32 v12, v14, v16
	v_mul_f32_e32 v14, v28, v9
	v_sub_f32_e32 v15, v25, v15
	v_fmac_f32_e32 v17, v13, v4
	v_fma_f32 v14, -v8, v27, v14
	v_mul_f32_e64 v8, v28, -v8
	v_sub_f32_e32 v13, v15, v17
	v_fma_f32 v15, -v9, v27, v8
	v_mul_f32_e32 v8, v20, v11
	v_mul_f32_e64 v9, v20, -v10
	v_fma_f32 v8, -v10, v4, v8
	v_fma_f32 v9, -v11, v4, v9
	s_barrier
	ds_write_b64 v7, v[2:3]
	ds_write_b64 v5, v[12:13] offset:4096
	ds_write_b64 v5, v[14:15]
	ds_write_b64 v6, v[8:9]
	s_waitcnt lgkmcnt(0)
	s_barrier
	s_and_saveexec_b64 s[2:3], vcc
	s_cbranch_execz .LBB64_14
; %bb.9:
	v_or_b32_e32 v4, 64, v0
	v_or_b32_e32 v8, 0x1000, v5
	v_cmp_le_i32_e32 vcc, s7, v4
                                        ; implicit-def: $vgpr3
	s_and_saveexec_b64 s[4:5], vcc
	s_xor_b64 s[4:5], exec, s[4:5]
	s_cbranch_execz .LBB64_11
; %bb.10:
	ds_read_b64 v[2:3], v7
	s_waitcnt lgkmcnt(0)
	v_mul_f32_e32 v4, v3, v3
	v_fmac_f32_e32 v4, v2, v2
	v_div_scale_f32 v6, s[6:7], v4, v4, 1.0
	v_div_scale_f32 v7, vcc, 1.0, v4, 1.0
	v_rcp_f32_e32 v9, v6
	v_fma_f32 v10, -v6, v9, 1.0
	v_fmac_f32_e32 v9, v10, v9
	v_mul_f32_e32 v10, v7, v9
	v_fma_f32 v11, -v6, v10, v7
	v_fmac_f32_e32 v10, v11, v9
	v_fma_f32 v6, -v6, v10, v7
	v_div_fmas_f32 v9, v6, v9, v10
	ds_read_b64 v[6:7], v8
	s_waitcnt lgkmcnt(0)
	v_mul_f32_e32 v8, v3, v7
	v_mul_f32_e64 v3, v3, -v6
	v_fmac_f32_e32 v8, v6, v2
	v_fmac_f32_e32 v3, v7, v2
                                        ; implicit-def: $vgpr7
                                        ; implicit-def: $vgpr6
	v_div_fixup_f32 v4, v9, v4, 1.0
	v_mul_f32_e32 v2, v4, v8
	v_mul_f32_e32 v3, v3, v4
                                        ; implicit-def: $vgpr8
                                        ; implicit-def: $vgpr4
.LBB64_11:
	s_andn2_saveexec_b64 s[4:5], s[4:5]
	s_cbranch_execz .LBB64_13
; %bb.12:
	ds_read2st64_b64 v[9:12], v7 offset1:1
	ds_read_b64 v[2:3], v6
	ds_read_b64 v[6:7], v5 offset:512
	s_waitcnt lgkmcnt(2)
	v_mul_f32_e32 v13, v10, v11
	v_mul_f32_e64 v0, v10, -v12
	s_waitcnt lgkmcnt(0)
	v_mul_f32_e32 v15, v7, v2
	v_fmac_f32_e32 v13, v12, v9
	v_mul_f32_e64 v14, v7, -v3
	v_fmac_f32_e32 v15, v3, v6
	v_fmac_f32_e32 v0, v11, v9
	;; [unrolled: 1-line block ×3, first 2 shown]
	v_sub_f32_e32 v17, v13, v15
	v_sub_f32_e32 v0, v0, v14
	v_mul_f32_e32 v18, v17, v17
	v_fmac_f32_e32 v18, v0, v0
	v_div_scale_f32 v19, s[6:7], v18, v18, 1.0
	v_div_scale_f32 v20, vcc, 1.0, v18, 1.0
	ds_read2st64_b64 v[13:16], v8 offset1:1
	s_waitcnt lgkmcnt(0)
	v_mul_f32_e64 v8, v14, -v12
	v_mul_f32_e32 v21, v14, v11
	v_mul_f32_e64 v23, v16, -v3
	v_mul_f32_e32 v24, v16, v2
	v_fmac_f32_e32 v8, v11, v13
	v_fmac_f32_e32 v21, v12, v13
	;; [unrolled: 1-line block ×3, first 2 shown]
	v_rcp_f32_e32 v22, v19
	v_fmac_f32_e32 v24, v3, v15
	v_fma_f32 v2, 0, v17, v0
	v_fma_f32 v0, v0, 0, -v17
	v_fma_f32 v26, -v19, v22, 1.0
	v_fmac_f32_e32 v22, v26, v22
	v_mul_f32_e32 v26, v20, v22
	v_fma_f32 v27, -v19, v26, v20
	v_fmac_f32_e32 v26, v27, v22
	v_fma_f32 v19, -v19, v26, v20
	v_div_fmas_f32 v19, v19, v22, v26
	v_mul_f32_e64 v20, v7, -v14
	v_mul_f32_e32 v7, v7, v13
	v_mul_f32_e64 v25, v10, -v16
	v_mul_f32_e32 v10, v10, v15
	v_fmac_f32_e32 v20, v13, v6
	v_fmac_f32_e32 v7, v14, v6
	v_sub_f32_e32 v6, v8, v23
	v_sub_f32_e32 v8, v21, v24
	v_fmac_f32_e32 v25, v15, v9
	v_fmac_f32_e32 v10, v16, v9
	v_div_fixup_f32 v3, v19, v18, 1.0
	v_mul_f32_e32 v0, v0, v3
	v_mul_f32_e32 v9, v2, v3
	v_mul_f32_e64 v2, v0, -v8
	v_mul_f32_e32 v3, v0, v6
	v_fmac_f32_e32 v2, v6, v9
	v_fmac_f32_e32 v3, v8, v9
	v_sub_f32_e32 v6, v10, v7
	ds_write_b64 v5, v[2:3] offset:3072
	v_sub_f32_e32 v3, v25, v20
	v_mul_f32_e64 v2, v0, -v6
	v_fmac_f32_e32 v2, v3, v9
	v_mul_f32_e32 v3, v0, v3
	v_fmac_f32_e32 v3, v6, v9
	v_mov_b32_e32 v0, v4
.LBB64_13:
	s_or_b64 exec, exec, s[4:5]
	v_lshlrev_b32_e32 v0, 3, v0
	ds_write_b64 v0, v[2:3] offset:3072
.LBB64_14:
	s_or_b64 exec, exec, s[2:3]
	s_waitcnt lgkmcnt(0)
	s_barrier
	s_and_saveexec_b64 s[2:3], s[0:1]
	s_cbranch_execz .LBB64_16
; %bb.15:
	v_mov_b32_e32 v2, 0
	v_lshlrev_b64 v[0:1], 3, v[1:2]
	ds_read_b64 v[2:3], v5 offset:3072
	v_mov_b32_e32 v4, s9
	v_add_co_u32_e32 v0, vcc, s8, v0
	v_addc_co_u32_e32 v1, vcc, v4, v1, vcc
	s_waitcnt lgkmcnt(0)
	global_store_dwordx2 v[0:1], v[2:3], off
.LBB64_16:
	s_endpgm
	.section	.rodata,"a",@progbits
	.p2align	6, 0x0
	.amdhsa_kernel _ZN9rocsparseL30gtsv_nopivot_pcr_shared_kernelILj128E21rocsparse_complex_numIfEEEviiiPKT0_S5_S5_PS3_
		.amdhsa_group_segment_fixed_size 5120
		.amdhsa_private_segment_fixed_size 0
		.amdhsa_kernarg_size 48
		.amdhsa_user_sgpr_count 6
		.amdhsa_user_sgpr_private_segment_buffer 1
		.amdhsa_user_sgpr_dispatch_ptr 0
		.amdhsa_user_sgpr_queue_ptr 0
		.amdhsa_user_sgpr_kernarg_segment_ptr 1
		.amdhsa_user_sgpr_dispatch_id 0
		.amdhsa_user_sgpr_flat_scratch_init 0
		.amdhsa_user_sgpr_private_segment_size 0
		.amdhsa_uses_dynamic_stack 0
		.amdhsa_system_sgpr_private_segment_wavefront_offset 0
		.amdhsa_system_sgpr_workgroup_id_x 1
		.amdhsa_system_sgpr_workgroup_id_y 0
		.amdhsa_system_sgpr_workgroup_id_z 0
		.amdhsa_system_sgpr_workgroup_info 0
		.amdhsa_system_vgpr_workitem_id 0
		.amdhsa_next_free_vgpr 37
		.amdhsa_next_free_sgpr 93
		.amdhsa_reserve_vcc 1
		.amdhsa_reserve_flat_scratch 0
		.amdhsa_float_round_mode_32 0
		.amdhsa_float_round_mode_16_64 0
		.amdhsa_float_denorm_mode_32 3
		.amdhsa_float_denorm_mode_16_64 3
		.amdhsa_dx10_clamp 1
		.amdhsa_ieee_mode 1
		.amdhsa_fp16_overflow 0
		.amdhsa_exception_fp_ieee_invalid_op 0
		.amdhsa_exception_fp_denorm_src 0
		.amdhsa_exception_fp_ieee_div_zero 0
		.amdhsa_exception_fp_ieee_overflow 0
		.amdhsa_exception_fp_ieee_underflow 0
		.amdhsa_exception_fp_ieee_inexact 0
		.amdhsa_exception_int_div_zero 0
	.end_amdhsa_kernel
	.section	.text._ZN9rocsparseL30gtsv_nopivot_pcr_shared_kernelILj128E21rocsparse_complex_numIfEEEviiiPKT0_S5_S5_PS3_,"axG",@progbits,_ZN9rocsparseL30gtsv_nopivot_pcr_shared_kernelILj128E21rocsparse_complex_numIfEEEviiiPKT0_S5_S5_PS3_,comdat
.Lfunc_end64:
	.size	_ZN9rocsparseL30gtsv_nopivot_pcr_shared_kernelILj128E21rocsparse_complex_numIfEEEviiiPKT0_S5_S5_PS3_, .Lfunc_end64-_ZN9rocsparseL30gtsv_nopivot_pcr_shared_kernelILj128E21rocsparse_complex_numIfEEEviiiPKT0_S5_S5_PS3_
                                        ; -- End function
	.set _ZN9rocsparseL30gtsv_nopivot_pcr_shared_kernelILj128E21rocsparse_complex_numIfEEEviiiPKT0_S5_S5_PS3_.num_vgpr, 29
	.set _ZN9rocsparseL30gtsv_nopivot_pcr_shared_kernelILj128E21rocsparse_complex_numIfEEEviiiPKT0_S5_S5_PS3_.num_agpr, 0
	.set _ZN9rocsparseL30gtsv_nopivot_pcr_shared_kernelILj128E21rocsparse_complex_numIfEEEviiiPKT0_S5_S5_PS3_.numbered_sgpr, 12
	.set _ZN9rocsparseL30gtsv_nopivot_pcr_shared_kernelILj128E21rocsparse_complex_numIfEEEviiiPKT0_S5_S5_PS3_.num_named_barrier, 0
	.set _ZN9rocsparseL30gtsv_nopivot_pcr_shared_kernelILj128E21rocsparse_complex_numIfEEEviiiPKT0_S5_S5_PS3_.private_seg_size, 0
	.set _ZN9rocsparseL30gtsv_nopivot_pcr_shared_kernelILj128E21rocsparse_complex_numIfEEEviiiPKT0_S5_S5_PS3_.uses_vcc, 1
	.set _ZN9rocsparseL30gtsv_nopivot_pcr_shared_kernelILj128E21rocsparse_complex_numIfEEEviiiPKT0_S5_S5_PS3_.uses_flat_scratch, 0
	.set _ZN9rocsparseL30gtsv_nopivot_pcr_shared_kernelILj128E21rocsparse_complex_numIfEEEviiiPKT0_S5_S5_PS3_.has_dyn_sized_stack, 0
	.set _ZN9rocsparseL30gtsv_nopivot_pcr_shared_kernelILj128E21rocsparse_complex_numIfEEEviiiPKT0_S5_S5_PS3_.has_recursion, 0
	.set _ZN9rocsparseL30gtsv_nopivot_pcr_shared_kernelILj128E21rocsparse_complex_numIfEEEviiiPKT0_S5_S5_PS3_.has_indirect_call, 0
	.section	.AMDGPU.csdata,"",@progbits
; Kernel info:
; codeLenInByte = 4172
; TotalNumSgprs: 16
; NumVgprs: 29
; ScratchSize: 0
; MemoryBound: 0
; FloatMode: 240
; IeeeMode: 1
; LDSByteSize: 5120 bytes/workgroup (compile time only)
; SGPRBlocks: 12
; VGPRBlocks: 9
; NumSGPRsForWavesPerEU: 97
; NumVGPRsForWavesPerEU: 37
; Occupancy: 6
; WaveLimiterHint : 0
; COMPUTE_PGM_RSRC2:SCRATCH_EN: 0
; COMPUTE_PGM_RSRC2:USER_SGPR: 6
; COMPUTE_PGM_RSRC2:TRAP_HANDLER: 0
; COMPUTE_PGM_RSRC2:TGID_X_EN: 1
; COMPUTE_PGM_RSRC2:TGID_Y_EN: 0
; COMPUTE_PGM_RSRC2:TGID_Z_EN: 0
; COMPUTE_PGM_RSRC2:TIDIG_COMP_CNT: 0
	.section	.text._ZN9rocsparseL30gtsv_nopivot_pcr_shared_kernelILj256E21rocsparse_complex_numIfEEEviiiPKT0_S5_S5_PS3_,"axG",@progbits,_ZN9rocsparseL30gtsv_nopivot_pcr_shared_kernelILj256E21rocsparse_complex_numIfEEEviiiPKT0_S5_S5_PS3_,comdat
	.globl	_ZN9rocsparseL30gtsv_nopivot_pcr_shared_kernelILj256E21rocsparse_complex_numIfEEEviiiPKT0_S5_S5_PS3_ ; -- Begin function _ZN9rocsparseL30gtsv_nopivot_pcr_shared_kernelILj256E21rocsparse_complex_numIfEEEviiiPKT0_S5_S5_PS3_
	.p2align	8
	.type	_ZN9rocsparseL30gtsv_nopivot_pcr_shared_kernelILj256E21rocsparse_complex_numIfEEEviiiPKT0_S5_S5_PS3_,@function
_ZN9rocsparseL30gtsv_nopivot_pcr_shared_kernelILj256E21rocsparse_complex_numIfEEEviiiPKT0_S5_S5_PS3_: ; @_ZN9rocsparseL30gtsv_nopivot_pcr_shared_kernelILj256E21rocsparse_complex_numIfEEEviiiPKT0_S5_S5_PS3_
; %bb.0:
	s_load_dword s7, s[4:5], 0x0
	v_mov_b32_e32 v1, 0
	v_lshlrev_b32_e32 v5, 3, v0
	v_mov_b32_e32 v2, 0
	v_mov_b32_e32 v3, 0
	s_waitcnt lgkmcnt(0)
	v_cmp_gt_i32_e64 s[0:1], s7, v0
	s_and_saveexec_b64 s[2:3], s[0:1]
	s_cbranch_execz .LBB65_2
; %bb.1:
	s_load_dwordx2 s[8:9], s[4:5], 0x10
	s_waitcnt lgkmcnt(0)
	global_load_dwordx2 v[2:3], v5, s[8:9]
.LBB65_2:
	s_or_b64 exec, exec, s[2:3]
	s_waitcnt vmcnt(0)
	ds_write_b64 v5, v[2:3]
	v_mov_b32_e32 v2, 0
	s_and_saveexec_b64 s[2:3], s[0:1]
	s_cbranch_execz .LBB65_4
; %bb.3:
	s_load_dwordx2 s[8:9], s[4:5], 0x18
	s_waitcnt lgkmcnt(0)
	global_load_dwordx2 v[1:2], v5, s[8:9]
.LBB65_4:
	s_or_b64 exec, exec, s[2:3]
	s_load_dwordx2 s[8:9], s[4:5], 0x28
	s_waitcnt vmcnt(0)
	ds_write_b64 v5, v[1:2] offset:2048
	v_mov_b32_e32 v2, 0
	v_mov_b32_e32 v3, 0
	;; [unrolled: 1-line block ×3, first 2 shown]
	s_and_saveexec_b64 s[2:3], s[0:1]
	s_cbranch_execz .LBB65_6
; %bb.5:
	s_load_dwordx2 s[10:11], s[4:5], 0x20
	s_waitcnt lgkmcnt(0)
	global_load_dwordx2 v[3:4], v5, s[10:11]
.LBB65_6:
	s_or_b64 exec, exec, s[2:3]
	s_load_dword s2, s[4:5], 0x8
	s_waitcnt vmcnt(0)
	ds_write_b64 v5, v[3:4] offset:4096
	v_mov_b32_e32 v3, 0
	s_waitcnt lgkmcnt(0)
	s_mul_i32 s2, s2, s6
	v_add_u32_e32 v1, s2, v0
	s_and_saveexec_b64 s[2:3], s[0:1]
	s_cbranch_execz .LBB65_8
; %bb.7:
	v_mov_b32_e32 v2, 0
	v_lshlrev_b64 v[2:3], 3, v[1:2]
	v_mov_b32_e32 v4, s9
	v_add_co_u32_e32 v2, vcc, s8, v2
	v_addc_co_u32_e32 v3, vcc, v4, v3, vcc
	global_load_dwordx2 v[2:3], v[2:3], off
.LBB65_8:
	s_or_b64 exec, exec, s[2:3]
	v_or_b32_e32 v7, 0x800, v5
	v_or_b32_e32 v6, 0x1000, v5
	;; [unrolled: 1-line block ×3, first 2 shown]
	s_add_i32 s4, s7, -1
	s_mov_b32 s5, 1
	s_mov_b32 s6, 7
	s_waitcnt vmcnt(0)
	ds_write_b64 v5, v[2:3] offset:8192
	s_waitcnt lgkmcnt(0)
	s_barrier
.LBB65_9:                               ; =>This Inner Loop Header: Depth=1
	v_subrev_u32_e32 v9, s5, v0
	v_add_u32_e32 v8, s5, v0
	v_max_i32_e32 v9, 0, v9
	v_min_i32_e32 v8, s4, v8
	v_lshlrev_b32_e32 v18, 3, v9
	ds_read_b64 v[2:3], v5
	ds_read_b64 v[16:17], v6
	;; [unrolled: 1-line block ×4, first 2 shown]
	v_lshlrev_b32_e32 v19, 3, v8
	ds_read2st64_b64 v[8:11], v18 offset1:4
	ds_read2st64_b64 v[12:15], v19 offset1:4
	s_lshl_b32 s5, s5, 1
	s_add_i32 s6, s6, -1
	s_cmp_eq_u32 s6, 0
	s_waitcnt lgkmcnt(1)
	v_mul_f32_e32 v26, v11, v11
	v_mul_f32_e32 v27, v11, v3
	s_waitcnt lgkmcnt(0)
	v_mul_f32_e32 v28, v15, v15
	v_fmac_f32_e32 v26, v10, v10
	v_mul_f32_e64 v11, v11, -v2
	v_fmac_f32_e32 v27, v2, v10
	v_fmac_f32_e32 v28, v14, v14
	v_div_scale_f32 v2, s[2:3], v26, v26, 1.0
	v_fmac_f32_e32 v11, v3, v10
	v_div_scale_f32 v3, s[2:3], v28, v28, 1.0
	v_div_scale_f32 v10, vcc, 1.0, v26, 1.0
	v_div_scale_f32 v31, s[2:3], 1.0, v28, 1.0
	v_mul_f32_e32 v29, v15, v17
	v_mul_f32_e64 v30, v15, -v16
	v_fmac_f32_e32 v29, v16, v14
	v_fmac_f32_e32 v30, v17, v14
	v_rcp_f32_e32 v20, v2
	v_rcp_f32_e32 v32, v3
	v_fma_f32 v14, -v2, v20, 1.0
	v_fmac_f32_e32 v20, v14, v20
	v_mul_f32_e32 v21, v10, v20
	v_fma_f32 v15, -v3, v32, 1.0
	v_fmac_f32_e32 v32, v15, v32
	v_mul_f32_e32 v33, v31, v32
	v_fma_f32 v14, -v2, v21, v10
	v_fma_f32 v15, -v3, v33, v31
	v_fmac_f32_e32 v21, v14, v20
	v_fmac_f32_e32 v33, v15, v32
	v_fma_f32 v2, -v2, v21, v10
	v_div_fmas_f32 v2, v2, v20, v21
	v_fma_f32 v3, -v3, v33, v31
	s_mov_b64 vcc, s[2:3]
	v_div_fmas_f32 v3, v3, v32, v33
	ds_read2st64_b64 v[14:17], v18 offset0:8 offset1:16
	ds_read2st64_b64 v[18:21], v19 offset0:8 offset1:16
	s_waitcnt lgkmcnt(0)
	s_barrier
	v_div_fixup_f32 v2, v2, v26, 1.0
	v_mul_f32_e32 v10, v2, v27
	v_mul_f32_e32 v2, v11, v2
	v_div_fixup_f32 v3, v3, v28, 1.0
	v_mul_f32_e32 v11, v3, v29
	v_mul_f32_e32 v26, v30, v3
	v_mul_f32_e64 v27, v2, -v15
	v_mul_f32_e32 v28, v2, v14
	v_mul_f32_e64 v29, v2, -v17
	v_mul_f32_e32 v30, v2, v16
	v_mul_f32_e32 v3, v2, v9
	v_mul_f32_e64 v31, v2, -v8
	v_fmac_f32_e32 v27, v14, v10
	v_fmac_f32_e32 v28, v15, v10
	v_mul_f32_e64 v14, v26, -v13
	v_mul_f32_e32 v15, v26, v12
	v_fmac_f32_e32 v29, v16, v10
	v_fmac_f32_e32 v30, v17, v10
	v_mul_f32_e64 v16, v26, -v21
	v_mul_f32_e32 v17, v26, v20
	v_fma_f32 v2, -v8, v10, v3
	v_fma_f32 v3, -v9, v10, v31
	v_mul_f32_e32 v8, v26, v19
	v_mul_f32_e64 v9, v26, -v18
	v_sub_f32_e32 v10, v24, v27
	v_sub_f32_e32 v24, v25, v28
	v_fmac_f32_e32 v14, v12, v11
	v_fmac_f32_e32 v15, v13, v11
	v_sub_f32_e32 v12, v22, v29
	v_sub_f32_e32 v13, v23, v30
	v_fmac_f32_e32 v16, v20, v11
	v_fmac_f32_e32 v17, v21, v11
	v_fma_f32 v8, -v18, v11, v8
	v_fma_f32 v9, -v19, v11, v9
	ds_write_b64 v5, v[2:3]
	v_sub_f32_e32 v2, v10, v14
	v_sub_f32_e32 v3, v24, v15
	;; [unrolled: 1-line block ×4, first 2 shown]
	ds_write_b64 v6, v[8:9]
	ds_write_b64 v7, v[2:3]
	;; [unrolled: 1-line block ×3, first 2 shown]
	s_waitcnt lgkmcnt(0)
	s_barrier
	s_cbranch_scc0 .LBB65_9
; %bb.10:
	s_movk_i32 s2, 0x80
	v_cmp_gt_u32_e32 vcc, s2, v0
	s_and_saveexec_b64 s[2:3], vcc
	s_cbranch_execz .LBB65_16
; %bb.11:
	v_or_b32_e32 v8, 0x80, v0
	v_cmp_le_i32_e32 vcc, s7, v8
                                        ; implicit-def: $vgpr3
	s_and_saveexec_b64 s[4:5], vcc
	s_xor_b64 s[4:5], exec, s[4:5]
	s_cbranch_execz .LBB65_13
; %bb.12:
	ds_read_b64 v[2:3], v7
	s_waitcnt lgkmcnt(0)
	v_mul_f32_e32 v8, v3, v3
	v_fmac_f32_e32 v8, v2, v2
	v_div_scale_f32 v6, s[6:7], v8, v8, 1.0
	v_div_scale_f32 v7, vcc, 1.0, v8, 1.0
	v_rcp_f32_e32 v9, v6
	v_fma_f32 v10, -v6, v9, 1.0
	v_fmac_f32_e32 v9, v10, v9
	v_mul_f32_e32 v10, v7, v9
	v_fma_f32 v11, -v6, v10, v7
	v_fmac_f32_e32 v10, v11, v9
	v_fma_f32 v6, -v6, v10, v7
	v_div_fmas_f32 v9, v6, v9, v10
	ds_read_b64 v[6:7], v4
	s_waitcnt lgkmcnt(0)
	v_mul_f32_e32 v4, v3, v7
	v_mul_f32_e64 v3, v3, -v6
	v_fmac_f32_e32 v4, v6, v2
	v_fmac_f32_e32 v3, v7, v2
                                        ; implicit-def: $vgpr7
	v_div_fixup_f32 v6, v9, v8, 1.0
	v_mul_f32_e32 v2, v6, v4
	v_mul_f32_e32 v3, v3, v6
                                        ; implicit-def: $vgpr6
                                        ; implicit-def: $vgpr4
                                        ; implicit-def: $vgpr8
.LBB65_13:
	s_andn2_saveexec_b64 s[4:5], s[4:5]
	s_cbranch_execz .LBB65_15
; %bb.14:
	ds_read2st64_b64 v[9:12], v7 offset1:2
	ds_read_b64 v[2:3], v6
	ds_read_b64 v[6:7], v5 offset:1024
	s_waitcnt lgkmcnt(2)
	v_mul_f32_e32 v13, v10, v11
	v_mul_f32_e64 v0, v10, -v12
	s_waitcnt lgkmcnt(0)
	v_mul_f32_e32 v15, v7, v2
	v_fmac_f32_e32 v13, v12, v9
	v_mul_f32_e64 v14, v7, -v3
	v_fmac_f32_e32 v15, v3, v6
	v_fmac_f32_e32 v0, v11, v9
	;; [unrolled: 1-line block ×3, first 2 shown]
	v_sub_f32_e32 v17, v13, v15
	v_sub_f32_e32 v0, v0, v14
	v_mul_f32_e32 v18, v17, v17
	v_fmac_f32_e32 v18, v0, v0
	v_div_scale_f32 v19, s[6:7], v18, v18, 1.0
	v_div_scale_f32 v20, vcc, 1.0, v18, 1.0
	ds_read2st64_b64 v[13:16], v4 offset1:2
	s_waitcnt lgkmcnt(0)
	v_mul_f32_e64 v4, v14, -v12
	v_mul_f32_e32 v21, v14, v11
	v_mul_f32_e64 v23, v16, -v3
	v_mul_f32_e32 v24, v16, v2
	v_fmac_f32_e32 v4, v11, v13
	v_fmac_f32_e32 v21, v12, v13
	v_fmac_f32_e32 v23, v2, v15
	v_rcp_f32_e32 v22, v19
	v_fmac_f32_e32 v24, v3, v15
	v_fma_f32 v2, 0, v17, v0
	v_fma_f32 v0, v0, 0, -v17
	v_fma_f32 v26, -v19, v22, 1.0
	v_fmac_f32_e32 v22, v26, v22
	v_mul_f32_e32 v26, v20, v22
	v_fma_f32 v27, -v19, v26, v20
	v_fmac_f32_e32 v26, v27, v22
	v_fma_f32 v19, -v19, v26, v20
	v_div_fmas_f32 v19, v19, v22, v26
	v_mul_f32_e64 v20, v7, -v14
	v_mul_f32_e32 v7, v7, v13
	v_mul_f32_e64 v25, v10, -v16
	v_mul_f32_e32 v10, v10, v15
	v_fmac_f32_e32 v20, v13, v6
	v_fmac_f32_e32 v7, v14, v6
	v_sub_f32_e32 v4, v4, v23
	v_sub_f32_e32 v6, v21, v24
	v_fmac_f32_e32 v25, v15, v9
	v_fmac_f32_e32 v10, v16, v9
	v_div_fixup_f32 v3, v19, v18, 1.0
	v_mul_f32_e32 v0, v0, v3
	v_mul_f32_e32 v9, v2, v3
	v_mul_f32_e64 v2, v0, -v6
	v_mul_f32_e32 v3, v0, v4
	v_fmac_f32_e32 v2, v4, v9
	v_fmac_f32_e32 v3, v6, v9
	v_sub_f32_e32 v4, v10, v7
	ds_write_b64 v5, v[2:3] offset:6144
	v_sub_f32_e32 v3, v25, v20
	v_mul_f32_e64 v2, v0, -v4
	v_fmac_f32_e32 v2, v3, v9
	v_mul_f32_e32 v3, v0, v3
	v_fmac_f32_e32 v3, v4, v9
	v_mov_b32_e32 v0, v8
.LBB65_15:
	s_or_b64 exec, exec, s[4:5]
	v_lshlrev_b32_e32 v0, 3, v0
	ds_write_b64 v0, v[2:3] offset:6144
.LBB65_16:
	s_or_b64 exec, exec, s[2:3]
	s_waitcnt lgkmcnt(0)
	s_barrier
	s_and_saveexec_b64 s[2:3], s[0:1]
	s_cbranch_execz .LBB65_18
; %bb.17:
	v_mov_b32_e32 v2, 0
	v_lshlrev_b64 v[0:1], 3, v[1:2]
	ds_read_b64 v[2:3], v5 offset:6144
	v_mov_b32_e32 v4, s9
	v_add_co_u32_e32 v0, vcc, s8, v0
	v_addc_co_u32_e32 v1, vcc, v4, v1, vcc
	s_waitcnt lgkmcnt(0)
	global_store_dwordx2 v[0:1], v[2:3], off
.LBB65_18:
	s_endpgm
	.section	.rodata,"a",@progbits
	.p2align	6, 0x0
	.amdhsa_kernel _ZN9rocsparseL30gtsv_nopivot_pcr_shared_kernelILj256E21rocsparse_complex_numIfEEEviiiPKT0_S5_S5_PS3_
		.amdhsa_group_segment_fixed_size 10240
		.amdhsa_private_segment_fixed_size 0
		.amdhsa_kernarg_size 48
		.amdhsa_user_sgpr_count 6
		.amdhsa_user_sgpr_private_segment_buffer 1
		.amdhsa_user_sgpr_dispatch_ptr 0
		.amdhsa_user_sgpr_queue_ptr 0
		.amdhsa_user_sgpr_kernarg_segment_ptr 1
		.amdhsa_user_sgpr_dispatch_id 0
		.amdhsa_user_sgpr_flat_scratch_init 0
		.amdhsa_user_sgpr_private_segment_size 0
		.amdhsa_uses_dynamic_stack 0
		.amdhsa_system_sgpr_private_segment_wavefront_offset 0
		.amdhsa_system_sgpr_workgroup_id_x 1
		.amdhsa_system_sgpr_workgroup_id_y 0
		.amdhsa_system_sgpr_workgroup_id_z 0
		.amdhsa_system_sgpr_workgroup_info 0
		.amdhsa_system_vgpr_workitem_id 0
		.amdhsa_next_free_vgpr 37
		.amdhsa_next_free_sgpr 93
		.amdhsa_reserve_vcc 1
		.amdhsa_reserve_flat_scratch 0
		.amdhsa_float_round_mode_32 0
		.amdhsa_float_round_mode_16_64 0
		.amdhsa_float_denorm_mode_32 3
		.amdhsa_float_denorm_mode_16_64 3
		.amdhsa_dx10_clamp 1
		.amdhsa_ieee_mode 1
		.amdhsa_fp16_overflow 0
		.amdhsa_exception_fp_ieee_invalid_op 0
		.amdhsa_exception_fp_denorm_src 0
		.amdhsa_exception_fp_ieee_div_zero 0
		.amdhsa_exception_fp_ieee_overflow 0
		.amdhsa_exception_fp_ieee_underflow 0
		.amdhsa_exception_fp_ieee_inexact 0
		.amdhsa_exception_int_div_zero 0
	.end_amdhsa_kernel
	.section	.text._ZN9rocsparseL30gtsv_nopivot_pcr_shared_kernelILj256E21rocsparse_complex_numIfEEEviiiPKT0_S5_S5_PS3_,"axG",@progbits,_ZN9rocsparseL30gtsv_nopivot_pcr_shared_kernelILj256E21rocsparse_complex_numIfEEEviiiPKT0_S5_S5_PS3_,comdat
.Lfunc_end65:
	.size	_ZN9rocsparseL30gtsv_nopivot_pcr_shared_kernelILj256E21rocsparse_complex_numIfEEEviiiPKT0_S5_S5_PS3_, .Lfunc_end65-_ZN9rocsparseL30gtsv_nopivot_pcr_shared_kernelILj256E21rocsparse_complex_numIfEEEviiiPKT0_S5_S5_PS3_
                                        ; -- End function
	.set _ZN9rocsparseL30gtsv_nopivot_pcr_shared_kernelILj256E21rocsparse_complex_numIfEEEviiiPKT0_S5_S5_PS3_.num_vgpr, 34
	.set _ZN9rocsparseL30gtsv_nopivot_pcr_shared_kernelILj256E21rocsparse_complex_numIfEEEviiiPKT0_S5_S5_PS3_.num_agpr, 0
	.set _ZN9rocsparseL30gtsv_nopivot_pcr_shared_kernelILj256E21rocsparse_complex_numIfEEEviiiPKT0_S5_S5_PS3_.numbered_sgpr, 12
	.set _ZN9rocsparseL30gtsv_nopivot_pcr_shared_kernelILj256E21rocsparse_complex_numIfEEEviiiPKT0_S5_S5_PS3_.num_named_barrier, 0
	.set _ZN9rocsparseL30gtsv_nopivot_pcr_shared_kernelILj256E21rocsparse_complex_numIfEEEviiiPKT0_S5_S5_PS3_.private_seg_size, 0
	.set _ZN9rocsparseL30gtsv_nopivot_pcr_shared_kernelILj256E21rocsparse_complex_numIfEEEviiiPKT0_S5_S5_PS3_.uses_vcc, 1
	.set _ZN9rocsparseL30gtsv_nopivot_pcr_shared_kernelILj256E21rocsparse_complex_numIfEEEviiiPKT0_S5_S5_PS3_.uses_flat_scratch, 0
	.set _ZN9rocsparseL30gtsv_nopivot_pcr_shared_kernelILj256E21rocsparse_complex_numIfEEEviiiPKT0_S5_S5_PS3_.has_dyn_sized_stack, 0
	.set _ZN9rocsparseL30gtsv_nopivot_pcr_shared_kernelILj256E21rocsparse_complex_numIfEEEviiiPKT0_S5_S5_PS3_.has_recursion, 0
	.set _ZN9rocsparseL30gtsv_nopivot_pcr_shared_kernelILj256E21rocsparse_complex_numIfEEEviiiPKT0_S5_S5_PS3_.has_indirect_call, 0
	.section	.AMDGPU.csdata,"",@progbits
; Kernel info:
; codeLenInByte = 1472
; TotalNumSgprs: 16
; NumVgprs: 34
; ScratchSize: 0
; MemoryBound: 0
; FloatMode: 240
; IeeeMode: 1
; LDSByteSize: 10240 bytes/workgroup (compile time only)
; SGPRBlocks: 12
; VGPRBlocks: 9
; NumSGPRsForWavesPerEU: 97
; NumVGPRsForWavesPerEU: 37
; Occupancy: 6
; WaveLimiterHint : 0
; COMPUTE_PGM_RSRC2:SCRATCH_EN: 0
; COMPUTE_PGM_RSRC2:USER_SGPR: 6
; COMPUTE_PGM_RSRC2:TRAP_HANDLER: 0
; COMPUTE_PGM_RSRC2:TGID_X_EN: 1
; COMPUTE_PGM_RSRC2:TGID_Y_EN: 0
; COMPUTE_PGM_RSRC2:TGID_Z_EN: 0
; COMPUTE_PGM_RSRC2:TIDIG_COMP_CNT: 0
	.section	.text._ZN9rocsparseL30gtsv_nopivot_pcr_shared_kernelILj512E21rocsparse_complex_numIfEEEviiiPKT0_S5_S5_PS3_,"axG",@progbits,_ZN9rocsparseL30gtsv_nopivot_pcr_shared_kernelILj512E21rocsparse_complex_numIfEEEviiiPKT0_S5_S5_PS3_,comdat
	.globl	_ZN9rocsparseL30gtsv_nopivot_pcr_shared_kernelILj512E21rocsparse_complex_numIfEEEviiiPKT0_S5_S5_PS3_ ; -- Begin function _ZN9rocsparseL30gtsv_nopivot_pcr_shared_kernelILj512E21rocsparse_complex_numIfEEEviiiPKT0_S5_S5_PS3_
	.p2align	8
	.type	_ZN9rocsparseL30gtsv_nopivot_pcr_shared_kernelILj512E21rocsparse_complex_numIfEEEviiiPKT0_S5_S5_PS3_,@function
_ZN9rocsparseL30gtsv_nopivot_pcr_shared_kernelILj512E21rocsparse_complex_numIfEEEviiiPKT0_S5_S5_PS3_: ; @_ZN9rocsparseL30gtsv_nopivot_pcr_shared_kernelILj512E21rocsparse_complex_numIfEEEviiiPKT0_S5_S5_PS3_
; %bb.0:
	s_load_dword s7, s[4:5], 0x0
	v_mov_b32_e32 v1, 0
	v_lshlrev_b32_e32 v5, 3, v0
	v_mov_b32_e32 v2, 0
	v_mov_b32_e32 v3, 0
	s_waitcnt lgkmcnt(0)
	v_cmp_gt_i32_e64 s[0:1], s7, v0
	s_and_saveexec_b64 s[2:3], s[0:1]
	s_cbranch_execz .LBB66_2
; %bb.1:
	s_load_dwordx2 s[8:9], s[4:5], 0x10
	s_waitcnt lgkmcnt(0)
	global_load_dwordx2 v[2:3], v5, s[8:9]
.LBB66_2:
	s_or_b64 exec, exec, s[2:3]
	s_waitcnt vmcnt(0)
	ds_write_b64 v5, v[2:3]
	v_mov_b32_e32 v2, 0
	s_and_saveexec_b64 s[2:3], s[0:1]
	s_cbranch_execz .LBB66_4
; %bb.3:
	s_load_dwordx2 s[8:9], s[4:5], 0x18
	s_waitcnt lgkmcnt(0)
	global_load_dwordx2 v[1:2], v5, s[8:9]
.LBB66_4:
	s_or_b64 exec, exec, s[2:3]
	s_load_dwordx2 s[8:9], s[4:5], 0x28
	s_waitcnt vmcnt(0)
	ds_write_b64 v5, v[1:2] offset:4096
	v_mov_b32_e32 v2, 0
	v_mov_b32_e32 v3, 0
	;; [unrolled: 1-line block ×3, first 2 shown]
	s_and_saveexec_b64 s[2:3], s[0:1]
	s_cbranch_execz .LBB66_6
; %bb.5:
	s_load_dwordx2 s[10:11], s[4:5], 0x20
	s_waitcnt lgkmcnt(0)
	global_load_dwordx2 v[3:4], v5, s[10:11]
.LBB66_6:
	s_or_b64 exec, exec, s[2:3]
	s_load_dword s2, s[4:5], 0x8
	s_waitcnt vmcnt(0)
	ds_write_b64 v5, v[3:4] offset:8192
	v_mov_b32_e32 v3, 0
	s_waitcnt lgkmcnt(0)
	s_mul_i32 s2, s2, s6
	v_add_u32_e32 v1, s2, v0
	s_and_saveexec_b64 s[2:3], s[0:1]
	s_cbranch_execz .LBB66_8
; %bb.7:
	v_mov_b32_e32 v2, 0
	v_lshlrev_b64 v[2:3], 3, v[1:2]
	v_mov_b32_e32 v4, s9
	v_add_co_u32_e32 v2, vcc, s8, v2
	v_addc_co_u32_e32 v3, vcc, v4, v3, vcc
	global_load_dwordx2 v[2:3], v[2:3], off
.LBB66_8:
	s_or_b64 exec, exec, s[2:3]
	v_or_b32_e32 v7, 0x1000, v5
	v_or_b32_e32 v6, 0x2000, v5
	;; [unrolled: 1-line block ×3, first 2 shown]
	s_add_i32 s4, s7, -1
	s_mov_b32 s5, 1
	s_mov_b32 s6, 8
	s_waitcnt vmcnt(0)
	ds_write_b64 v5, v[2:3] offset:16384
	s_waitcnt lgkmcnt(0)
	s_barrier
.LBB66_9:                               ; =>This Inner Loop Header: Depth=1
	v_subrev_u32_e32 v9, s5, v0
	v_add_u32_e32 v8, s5, v0
	v_max_i32_e32 v9, 0, v9
	v_min_i32_e32 v8, s4, v8
	v_lshlrev_b32_e32 v18, 3, v9
	ds_read_b64 v[2:3], v5
	ds_read_b64 v[16:17], v6
	ds_read_b64 v[22:23], v4
	ds_read_b64 v[24:25], v7
	v_lshlrev_b32_e32 v19, 3, v8
	ds_read2st64_b64 v[8:11], v18 offset1:8
	ds_read2st64_b64 v[12:15], v19 offset1:8
	s_lshl_b32 s5, s5, 1
	s_add_i32 s6, s6, -1
	s_cmp_eq_u32 s6, 0
	s_waitcnt lgkmcnt(1)
	v_mul_f32_e32 v26, v11, v11
	v_mul_f32_e32 v27, v11, v3
	s_waitcnt lgkmcnt(0)
	v_mul_f32_e32 v28, v15, v15
	v_fmac_f32_e32 v26, v10, v10
	v_mul_f32_e64 v11, v11, -v2
	v_fmac_f32_e32 v27, v2, v10
	v_fmac_f32_e32 v28, v14, v14
	v_div_scale_f32 v2, s[2:3], v26, v26, 1.0
	v_fmac_f32_e32 v11, v3, v10
	v_div_scale_f32 v3, s[2:3], v28, v28, 1.0
	v_div_scale_f32 v10, vcc, 1.0, v26, 1.0
	v_div_scale_f32 v31, s[2:3], 1.0, v28, 1.0
	v_mul_f32_e32 v29, v15, v17
	v_mul_f32_e64 v30, v15, -v16
	v_fmac_f32_e32 v29, v16, v14
	v_fmac_f32_e32 v30, v17, v14
	v_rcp_f32_e32 v20, v2
	v_rcp_f32_e32 v32, v3
	v_fma_f32 v14, -v2, v20, 1.0
	v_fmac_f32_e32 v20, v14, v20
	v_mul_f32_e32 v21, v10, v20
	v_fma_f32 v15, -v3, v32, 1.0
	v_fmac_f32_e32 v32, v15, v32
	v_mul_f32_e32 v33, v31, v32
	v_fma_f32 v14, -v2, v21, v10
	v_fma_f32 v15, -v3, v33, v31
	v_fmac_f32_e32 v21, v14, v20
	v_fmac_f32_e32 v33, v15, v32
	v_fma_f32 v2, -v2, v21, v10
	v_div_fmas_f32 v2, v2, v20, v21
	v_fma_f32 v3, -v3, v33, v31
	s_mov_b64 vcc, s[2:3]
	v_div_fmas_f32 v3, v3, v32, v33
	ds_read2st64_b64 v[14:17], v18 offset0:16 offset1:32
	ds_read2st64_b64 v[18:21], v19 offset0:16 offset1:32
	s_waitcnt lgkmcnt(0)
	s_barrier
	v_div_fixup_f32 v2, v2, v26, 1.0
	v_mul_f32_e32 v10, v2, v27
	v_mul_f32_e32 v2, v11, v2
	v_div_fixup_f32 v3, v3, v28, 1.0
	v_mul_f32_e32 v11, v3, v29
	v_mul_f32_e32 v26, v30, v3
	v_mul_f32_e64 v27, v2, -v15
	v_mul_f32_e32 v28, v2, v14
	v_mul_f32_e64 v29, v2, -v17
	v_mul_f32_e32 v30, v2, v16
	v_mul_f32_e32 v3, v2, v9
	v_mul_f32_e64 v31, v2, -v8
	v_fmac_f32_e32 v27, v14, v10
	v_fmac_f32_e32 v28, v15, v10
	v_mul_f32_e64 v14, v26, -v13
	v_mul_f32_e32 v15, v26, v12
	v_fmac_f32_e32 v29, v16, v10
	v_fmac_f32_e32 v30, v17, v10
	v_mul_f32_e64 v16, v26, -v21
	v_mul_f32_e32 v17, v26, v20
	v_fma_f32 v2, -v8, v10, v3
	v_fma_f32 v3, -v9, v10, v31
	v_mul_f32_e32 v8, v26, v19
	v_mul_f32_e64 v9, v26, -v18
	v_sub_f32_e32 v10, v24, v27
	v_sub_f32_e32 v24, v25, v28
	v_fmac_f32_e32 v14, v12, v11
	v_fmac_f32_e32 v15, v13, v11
	v_sub_f32_e32 v12, v22, v29
	v_sub_f32_e32 v13, v23, v30
	v_fmac_f32_e32 v16, v20, v11
	v_fmac_f32_e32 v17, v21, v11
	v_fma_f32 v8, -v18, v11, v8
	v_fma_f32 v9, -v19, v11, v9
	ds_write_b64 v5, v[2:3]
	v_sub_f32_e32 v2, v10, v14
	v_sub_f32_e32 v3, v24, v15
	;; [unrolled: 1-line block ×4, first 2 shown]
	ds_write_b64 v6, v[8:9]
	ds_write_b64 v7, v[2:3]
	;; [unrolled: 1-line block ×3, first 2 shown]
	s_waitcnt lgkmcnt(0)
	s_barrier
	s_cbranch_scc0 .LBB66_9
; %bb.10:
	s_movk_i32 s2, 0x100
	v_cmp_gt_u32_e32 vcc, s2, v0
	s_and_saveexec_b64 s[2:3], vcc
	s_cbranch_execz .LBB66_16
; %bb.11:
	v_or_b32_e32 v8, 0x100, v0
	v_cmp_le_i32_e32 vcc, s7, v8
                                        ; implicit-def: $vgpr3
	s_and_saveexec_b64 s[4:5], vcc
	s_xor_b64 s[4:5], exec, s[4:5]
	s_cbranch_execz .LBB66_13
; %bb.12:
	ds_read_b64 v[2:3], v7
	s_waitcnt lgkmcnt(0)
	v_mul_f32_e32 v8, v3, v3
	v_fmac_f32_e32 v8, v2, v2
	v_div_scale_f32 v6, s[6:7], v8, v8, 1.0
	v_div_scale_f32 v7, vcc, 1.0, v8, 1.0
	v_rcp_f32_e32 v9, v6
	v_fma_f32 v10, -v6, v9, 1.0
	v_fmac_f32_e32 v9, v10, v9
	v_mul_f32_e32 v10, v7, v9
	v_fma_f32 v11, -v6, v10, v7
	v_fmac_f32_e32 v10, v11, v9
	v_fma_f32 v6, -v6, v10, v7
	v_div_fmas_f32 v9, v6, v9, v10
	ds_read_b64 v[6:7], v4
	s_waitcnt lgkmcnt(0)
	v_mul_f32_e32 v4, v3, v7
	v_mul_f32_e64 v3, v3, -v6
	v_fmac_f32_e32 v4, v6, v2
	v_fmac_f32_e32 v3, v7, v2
                                        ; implicit-def: $vgpr7
	v_div_fixup_f32 v6, v9, v8, 1.0
	v_mul_f32_e32 v2, v6, v4
	v_mul_f32_e32 v3, v3, v6
                                        ; implicit-def: $vgpr6
                                        ; implicit-def: $vgpr4
                                        ; implicit-def: $vgpr8
.LBB66_13:
	s_andn2_saveexec_b64 s[4:5], s[4:5]
	s_cbranch_execz .LBB66_15
; %bb.14:
	ds_read2st64_b64 v[9:12], v7 offset1:4
	ds_read_b64 v[2:3], v6
	ds_read_b64 v[6:7], v5 offset:2048
	s_waitcnt lgkmcnt(2)
	v_mul_f32_e32 v13, v10, v11
	v_mul_f32_e64 v0, v10, -v12
	s_waitcnt lgkmcnt(0)
	v_mul_f32_e32 v15, v7, v2
	v_fmac_f32_e32 v13, v12, v9
	v_mul_f32_e64 v14, v7, -v3
	v_fmac_f32_e32 v15, v3, v6
	v_fmac_f32_e32 v0, v11, v9
	;; [unrolled: 1-line block ×3, first 2 shown]
	v_sub_f32_e32 v17, v13, v15
	v_sub_f32_e32 v0, v0, v14
	v_mul_f32_e32 v18, v17, v17
	v_fmac_f32_e32 v18, v0, v0
	v_div_scale_f32 v19, s[6:7], v18, v18, 1.0
	v_div_scale_f32 v20, vcc, 1.0, v18, 1.0
	ds_read2st64_b64 v[13:16], v4 offset1:4
	s_waitcnt lgkmcnt(0)
	v_mul_f32_e64 v4, v14, -v12
	v_mul_f32_e32 v21, v14, v11
	v_mul_f32_e64 v23, v16, -v3
	v_mul_f32_e32 v24, v16, v2
	v_fmac_f32_e32 v4, v11, v13
	v_fmac_f32_e32 v21, v12, v13
	;; [unrolled: 1-line block ×3, first 2 shown]
	v_rcp_f32_e32 v22, v19
	v_fmac_f32_e32 v24, v3, v15
	v_fma_f32 v2, 0, v17, v0
	v_fma_f32 v0, v0, 0, -v17
	v_fma_f32 v26, -v19, v22, 1.0
	v_fmac_f32_e32 v22, v26, v22
	v_mul_f32_e32 v26, v20, v22
	v_fma_f32 v27, -v19, v26, v20
	v_fmac_f32_e32 v26, v27, v22
	v_fma_f32 v19, -v19, v26, v20
	v_div_fmas_f32 v19, v19, v22, v26
	v_mul_f32_e64 v20, v7, -v14
	v_mul_f32_e32 v7, v7, v13
	v_mul_f32_e64 v25, v10, -v16
	v_mul_f32_e32 v10, v10, v15
	v_fmac_f32_e32 v20, v13, v6
	v_fmac_f32_e32 v7, v14, v6
	v_sub_f32_e32 v4, v4, v23
	v_sub_f32_e32 v6, v21, v24
	v_fmac_f32_e32 v25, v15, v9
	v_fmac_f32_e32 v10, v16, v9
	v_div_fixup_f32 v3, v19, v18, 1.0
	v_mul_f32_e32 v0, v0, v3
	v_mul_f32_e32 v9, v2, v3
	v_mul_f32_e64 v2, v0, -v6
	v_mul_f32_e32 v3, v0, v4
	v_fmac_f32_e32 v2, v4, v9
	v_fmac_f32_e32 v3, v6, v9
	v_sub_f32_e32 v4, v10, v7
	ds_write_b64 v5, v[2:3] offset:12288
	v_sub_f32_e32 v3, v25, v20
	v_mul_f32_e64 v2, v0, -v4
	v_fmac_f32_e32 v2, v3, v9
	v_mul_f32_e32 v3, v0, v3
	v_fmac_f32_e32 v3, v4, v9
	v_mov_b32_e32 v0, v8
.LBB66_15:
	s_or_b64 exec, exec, s[4:5]
	v_lshlrev_b32_e32 v0, 3, v0
	ds_write_b64 v0, v[2:3] offset:12288
.LBB66_16:
	s_or_b64 exec, exec, s[2:3]
	s_waitcnt lgkmcnt(0)
	s_barrier
	s_and_saveexec_b64 s[2:3], s[0:1]
	s_cbranch_execz .LBB66_18
; %bb.17:
	v_mov_b32_e32 v2, 0
	v_lshlrev_b64 v[0:1], 3, v[1:2]
	ds_read_b64 v[2:3], v5 offset:12288
	v_mov_b32_e32 v4, s9
	v_add_co_u32_e32 v0, vcc, s8, v0
	v_addc_co_u32_e32 v1, vcc, v4, v1, vcc
	s_waitcnt lgkmcnt(0)
	global_store_dwordx2 v[0:1], v[2:3], off
.LBB66_18:
	s_endpgm
	.section	.rodata,"a",@progbits
	.p2align	6, 0x0
	.amdhsa_kernel _ZN9rocsparseL30gtsv_nopivot_pcr_shared_kernelILj512E21rocsparse_complex_numIfEEEviiiPKT0_S5_S5_PS3_
		.amdhsa_group_segment_fixed_size 20480
		.amdhsa_private_segment_fixed_size 0
		.amdhsa_kernarg_size 48
		.amdhsa_user_sgpr_count 6
		.amdhsa_user_sgpr_private_segment_buffer 1
		.amdhsa_user_sgpr_dispatch_ptr 0
		.amdhsa_user_sgpr_queue_ptr 0
		.amdhsa_user_sgpr_kernarg_segment_ptr 1
		.amdhsa_user_sgpr_dispatch_id 0
		.amdhsa_user_sgpr_flat_scratch_init 0
		.amdhsa_user_sgpr_private_segment_size 0
		.amdhsa_uses_dynamic_stack 0
		.amdhsa_system_sgpr_private_segment_wavefront_offset 0
		.amdhsa_system_sgpr_workgroup_id_x 1
		.amdhsa_system_sgpr_workgroup_id_y 0
		.amdhsa_system_sgpr_workgroup_id_z 0
		.amdhsa_system_sgpr_workgroup_info 0
		.amdhsa_system_vgpr_workitem_id 0
		.amdhsa_next_free_vgpr 37
		.amdhsa_next_free_sgpr 93
		.amdhsa_reserve_vcc 1
		.amdhsa_reserve_flat_scratch 0
		.amdhsa_float_round_mode_32 0
		.amdhsa_float_round_mode_16_64 0
		.amdhsa_float_denorm_mode_32 3
		.amdhsa_float_denorm_mode_16_64 3
		.amdhsa_dx10_clamp 1
		.amdhsa_ieee_mode 1
		.amdhsa_fp16_overflow 0
		.amdhsa_exception_fp_ieee_invalid_op 0
		.amdhsa_exception_fp_denorm_src 0
		.amdhsa_exception_fp_ieee_div_zero 0
		.amdhsa_exception_fp_ieee_overflow 0
		.amdhsa_exception_fp_ieee_underflow 0
		.amdhsa_exception_fp_ieee_inexact 0
		.amdhsa_exception_int_div_zero 0
	.end_amdhsa_kernel
	.section	.text._ZN9rocsparseL30gtsv_nopivot_pcr_shared_kernelILj512E21rocsparse_complex_numIfEEEviiiPKT0_S5_S5_PS3_,"axG",@progbits,_ZN9rocsparseL30gtsv_nopivot_pcr_shared_kernelILj512E21rocsparse_complex_numIfEEEviiiPKT0_S5_S5_PS3_,comdat
.Lfunc_end66:
	.size	_ZN9rocsparseL30gtsv_nopivot_pcr_shared_kernelILj512E21rocsparse_complex_numIfEEEviiiPKT0_S5_S5_PS3_, .Lfunc_end66-_ZN9rocsparseL30gtsv_nopivot_pcr_shared_kernelILj512E21rocsparse_complex_numIfEEEviiiPKT0_S5_S5_PS3_
                                        ; -- End function
	.set _ZN9rocsparseL30gtsv_nopivot_pcr_shared_kernelILj512E21rocsparse_complex_numIfEEEviiiPKT0_S5_S5_PS3_.num_vgpr, 34
	.set _ZN9rocsparseL30gtsv_nopivot_pcr_shared_kernelILj512E21rocsparse_complex_numIfEEEviiiPKT0_S5_S5_PS3_.num_agpr, 0
	.set _ZN9rocsparseL30gtsv_nopivot_pcr_shared_kernelILj512E21rocsparse_complex_numIfEEEviiiPKT0_S5_S5_PS3_.numbered_sgpr, 12
	.set _ZN9rocsparseL30gtsv_nopivot_pcr_shared_kernelILj512E21rocsparse_complex_numIfEEEviiiPKT0_S5_S5_PS3_.num_named_barrier, 0
	.set _ZN9rocsparseL30gtsv_nopivot_pcr_shared_kernelILj512E21rocsparse_complex_numIfEEEviiiPKT0_S5_S5_PS3_.private_seg_size, 0
	.set _ZN9rocsparseL30gtsv_nopivot_pcr_shared_kernelILj512E21rocsparse_complex_numIfEEEviiiPKT0_S5_S5_PS3_.uses_vcc, 1
	.set _ZN9rocsparseL30gtsv_nopivot_pcr_shared_kernelILj512E21rocsparse_complex_numIfEEEviiiPKT0_S5_S5_PS3_.uses_flat_scratch, 0
	.set _ZN9rocsparseL30gtsv_nopivot_pcr_shared_kernelILj512E21rocsparse_complex_numIfEEEviiiPKT0_S5_S5_PS3_.has_dyn_sized_stack, 0
	.set _ZN9rocsparseL30gtsv_nopivot_pcr_shared_kernelILj512E21rocsparse_complex_numIfEEEviiiPKT0_S5_S5_PS3_.has_recursion, 0
	.set _ZN9rocsparseL30gtsv_nopivot_pcr_shared_kernelILj512E21rocsparse_complex_numIfEEEviiiPKT0_S5_S5_PS3_.has_indirect_call, 0
	.section	.AMDGPU.csdata,"",@progbits
; Kernel info:
; codeLenInByte = 1472
; TotalNumSgprs: 16
; NumVgprs: 34
; ScratchSize: 0
; MemoryBound: 0
; FloatMode: 240
; IeeeMode: 1
; LDSByteSize: 20480 bytes/workgroup (compile time only)
; SGPRBlocks: 12
; VGPRBlocks: 9
; NumSGPRsForWavesPerEU: 97
; NumVGPRsForWavesPerEU: 37
; Occupancy: 6
; WaveLimiterHint : 0
; COMPUTE_PGM_RSRC2:SCRATCH_EN: 0
; COMPUTE_PGM_RSRC2:USER_SGPR: 6
; COMPUTE_PGM_RSRC2:TRAP_HANDLER: 0
; COMPUTE_PGM_RSRC2:TGID_X_EN: 1
; COMPUTE_PGM_RSRC2:TGID_Y_EN: 0
; COMPUTE_PGM_RSRC2:TGID_Z_EN: 0
; COMPUTE_PGM_RSRC2:TIDIG_COMP_CNT: 0
	.section	.text._ZN9rocsparseL37gtsv_nopivot_pcr_pow2_stage1_n_kernelILj256E21rocsparse_complex_numIfEEEviiiiPKT0_S5_S5_S5_PS3_S6_S6_S6_,"axG",@progbits,_ZN9rocsparseL37gtsv_nopivot_pcr_pow2_stage1_n_kernelILj256E21rocsparse_complex_numIfEEEviiiiPKT0_S5_S5_S5_PS3_S6_S6_S6_,comdat
	.globl	_ZN9rocsparseL37gtsv_nopivot_pcr_pow2_stage1_n_kernelILj256E21rocsparse_complex_numIfEEEviiiiPKT0_S5_S5_S5_PS3_S6_S6_S6_ ; -- Begin function _ZN9rocsparseL37gtsv_nopivot_pcr_pow2_stage1_n_kernelILj256E21rocsparse_complex_numIfEEEviiiiPKT0_S5_S5_S5_PS3_S6_S6_S6_
	.p2align	8
	.type	_ZN9rocsparseL37gtsv_nopivot_pcr_pow2_stage1_n_kernelILj256E21rocsparse_complex_numIfEEEviiiiPKT0_S5_S5_S5_PS3_S6_S6_S6_,@function
_ZN9rocsparseL37gtsv_nopivot_pcr_pow2_stage1_n_kernelILj256E21rocsparse_complex_numIfEEEviiiiPKT0_S5_S5_S5_PS3_S6_S6_S6_: ; @_ZN9rocsparseL37gtsv_nopivot_pcr_pow2_stage1_n_kernelILj256E21rocsparse_complex_numIfEEEviiiiPKT0_S5_S5_S5_PS3_S6_S6_S6_
; %bb.0:
	s_load_dwordx8 s[8:15], s[4:5], 0x30
	s_load_dwordx2 s[24:25], s[4:5], 0x0
	s_load_dword s26, s[4:5], 0xc
	s_load_dwordx8 s[16:23], s[4:5], 0x10
	v_lshl_or_b32 v0, s6, 8, v0
	v_mov_b32_e32 v4, 0
	s_waitcnt lgkmcnt(0)
	v_add_u32_e32 v1, s24, v0
	s_add_i32 s0, s25, -1
	v_min_i32_e32 v2, s0, v1
	v_subrev_u32_e32 v1, s24, v0
	v_max_i32_e32 v3, 0, v1
	v_ashrrev_i32_e32 v1, 31, v0
	v_lshlrev_b64 v[0:1], 3, v[0:1]
	v_mov_b32_e32 v15, s17
	v_add_co_u32_e32 v5, vcc, s16, v0
	v_lshlrev_b64 v[7:8], 3, v[3:4]
	v_addc_co_u32_e32 v6, vcc, v15, v1, vcc
	v_add_co_u32_e32 v3, vcc, s18, v7
	v_mov_b32_e32 v16, s19
	v_addc_co_u32_e32 v4, vcc, v16, v8, vcc
	global_load_dwordx2 v[9:10], v[5:6], off
	global_load_dwordx2 v[11:12], v[3:4], off
	s_mul_i32 s2, s25, s7
	s_mov_b32 s3, 0
	s_lshl_b64 s[4:5], s[2:3], 3
	s_add_u32 s1, s14, s4
	s_mul_i32 s2, s26, s7
	s_addc_u32 s0, s15, s5
	s_lshl_b64 s[4:5], s[2:3], 3
	s_add_u32 s3, s22, s4
	s_addc_u32 s2, s23, s5
	s_waitcnt vmcnt(0)
	v_mul_f32_e32 v3, v12, v12
	v_fmac_f32_e32 v3, v11, v11
	v_div_scale_f32 v4, s[4:5], v3, v3, 1.0
	v_rcp_f32_e32 v5, v4
	v_fma_f32 v6, -v4, v5, 1.0
	v_fmac_f32_e32 v5, v6, v5
	v_div_scale_f32 v6, vcc, 1.0, v3, 1.0
	v_mul_f32_e32 v13, v6, v5
	v_fma_f32 v14, -v4, v13, v6
	v_fmac_f32_e32 v13, v14, v5
	v_fma_f32 v4, -v4, v13, v6
	v_div_fmas_f32 v4, v4, v5, v13
	v_mov_b32_e32 v6, s21
	v_div_fixup_f32 v3, v4, v3, 1.0
	v_mul_f32_e32 v4, v12, v10
	v_fmac_f32_e32 v4, v9, v11
	v_mul_f32_e32 v17, v3, v4
	v_mul_f32_e64 v4, v12, -v9
	v_fmac_f32_e32 v4, v10, v11
	v_mul_f32_e32 v18, v4, v3
	v_ashrrev_i32_e32 v3, 31, v2
	v_add_co_u32_e32 v4, vcc, s20, v0
	v_lshlrev_b64 v[2:3], 3, v[2:3]
	v_addc_co_u32_e32 v5, vcc, v6, v1, vcc
	v_add_co_u32_e32 v9, vcc, s18, v2
	v_addc_co_u32_e32 v10, vcc, v16, v3, vcc
	global_load_dwordx2 v[11:12], v[4:5], off
	global_load_dwordx2 v[13:14], v[9:10], off
	s_waitcnt vmcnt(0)
	v_mul_f32_e32 v4, v14, v14
	v_fmac_f32_e32 v4, v13, v13
	v_div_scale_f32 v5, s[4:5], v4, v4, 1.0
	v_rcp_f32_e32 v9, v5
	v_fma_f32 v10, -v5, v9, 1.0
	v_fmac_f32_e32 v9, v10, v9
	v_div_scale_f32 v10, vcc, 1.0, v4, 1.0
	v_mul_f32_e32 v19, v10, v9
	v_fma_f32 v20, -v5, v19, v10
	v_fmac_f32_e32 v19, v20, v9
	v_fma_f32 v5, -v5, v19, v10
	v_div_fmas_f32 v5, v5, v9, v19
	v_div_fixup_f32 v4, v5, v4, 1.0
	v_mul_f32_e32 v5, v14, v12
	v_fmac_f32_e32 v5, v11, v13
	v_mul_f32_e32 v19, v4, v5
	v_mul_f32_e64 v5, v14, -v11
	v_fmac_f32_e32 v5, v12, v13
	v_mul_f32_e32 v20, v5, v4
	v_add_co_u32_e32 v4, vcc, s16, v7
	v_addc_co_u32_e32 v5, vcc, v15, v8, vcc
	v_add_co_u32_e32 v9, vcc, s20, v2
	v_addc_co_u32_e32 v10, vcc, v6, v3, vcc
	;; [unrolled: 2-line block ×4, first 2 shown]
	global_load_dwordx2 v[13:14], v[13:14], off
	s_waitcnt vmcnt(0)
	v_mul_f32_e64 v6, v18, -v14
	global_load_dwordx2 v[11:12], v[11:12], off
	v_fmac_f32_e32 v6, v13, v17
	v_mul_f32_e32 v13, v18, v13
	v_fmac_f32_e32 v13, v14, v17
	global_load_dwordx2 v[4:5], v[4:5], off
	s_waitcnt vmcnt(1)
	v_sub_f32_e32 v6, v11, v6
	v_add_co_u32_e32 v11, vcc, s16, v2
	v_sub_f32_e32 v13, v12, v13
	v_addc_co_u32_e32 v12, vcc, v15, v3, vcc
	global_load_dwordx2 v[11:12], v[11:12], off
	s_waitcnt vmcnt(0)
	v_mul_f32_e64 v14, v20, -v12
	global_load_dwordx2 v[9:10], v[9:10], off
	v_mul_f32_e32 v15, v20, v11
	v_fmac_f32_e32 v14, v11, v19
	v_fmac_f32_e32 v15, v12, v19
	v_sub_f32_e32 v11, v6, v14
	v_sub_f32_e32 v12, v13, v15
	v_add_co_u32_e32 v13, vcc, s10, v0
	v_mov_b32_e32 v6, s11
	v_addc_co_u32_e32 v14, vcc, v6, v1, vcc
	v_mul_f32_e32 v6, v18, v5
	global_store_dwordx2 v[13:14], v[11:12], off
	v_fma_f32 v11, -v4, v17, v6
	v_mul_f32_e64 v4, v18, -v4
	v_fma_f32 v12, -v5, v17, v4
	v_add_co_u32_e32 v4, vcc, s8, v0
	v_mov_b32_e32 v5, s9
	v_addc_co_u32_e32 v5, vcc, v5, v1, vcc
	global_store_dwordx2 v[4:5], v[11:12], off
	v_mov_b32_e32 v6, s13
	s_waitcnt vmcnt(2)
	v_mul_f32_e32 v4, v20, v10
	v_fma_f32 v4, -v9, v19, v4
	v_mul_f32_e64 v5, v20, -v9
	v_add_co_u32_e32 v9, vcc, s12, v0
	v_fma_f32 v5, -v10, v19, v5
	v_addc_co_u32_e32 v10, vcc, v6, v1, vcc
	global_store_dwordx2 v[9:10], v[4:5], off
	v_add_co_u32_e32 v2, vcc, s3, v2
	v_mov_b32_e32 v4, s2
	v_addc_co_u32_e32 v3, vcc, v4, v3, vcc
	v_add_co_u32_e32 v4, vcc, s3, v7
	v_mov_b32_e32 v5, s2
	v_addc_co_u32_e32 v5, vcc, v5, v8, vcc
	global_load_dwordx2 v[2:3], v[2:3], off
	v_add_co_u32_e32 v6, vcc, s3, v0
	global_load_dwordx2 v[4:5], v[4:5], off
	v_mov_b32_e32 v7, s2
	v_addc_co_u32_e32 v7, vcc, v7, v1, vcc
	v_add_co_u32_e32 v0, vcc, s1, v0
	s_waitcnt vmcnt(0)
	v_mul_f32_e64 v8, v18, -v5
	v_mul_f32_e32 v9, v18, v4
	v_fmac_f32_e32 v8, v4, v17
	v_fmac_f32_e32 v9, v5, v17
	global_load_dwordx2 v[4:5], v[6:7], off
	v_mul_f32_e64 v6, v20, -v3
	v_fmac_f32_e32 v6, v2, v19
	v_mul_f32_e32 v7, v20, v2
	v_fmac_f32_e32 v7, v3, v19
	s_waitcnt vmcnt(0)
	v_sub_f32_e32 v4, v4, v8
	v_sub_f32_e32 v5, v5, v9
	;; [unrolled: 1-line block ×3, first 2 shown]
	v_mov_b32_e32 v4, s0
	v_sub_f32_e32 v3, v5, v7
	v_addc_co_u32_e32 v1, vcc, v4, v1, vcc
	global_store_dwordx2 v[0:1], v[2:3], off
	s_endpgm
	.section	.rodata,"a",@progbits
	.p2align	6, 0x0
	.amdhsa_kernel _ZN9rocsparseL37gtsv_nopivot_pcr_pow2_stage1_n_kernelILj256E21rocsparse_complex_numIfEEEviiiiPKT0_S5_S5_S5_PS3_S6_S6_S6_
		.amdhsa_group_segment_fixed_size 0
		.amdhsa_private_segment_fixed_size 0
		.amdhsa_kernarg_size 80
		.amdhsa_user_sgpr_count 6
		.amdhsa_user_sgpr_private_segment_buffer 1
		.amdhsa_user_sgpr_dispatch_ptr 0
		.amdhsa_user_sgpr_queue_ptr 0
		.amdhsa_user_sgpr_kernarg_segment_ptr 1
		.amdhsa_user_sgpr_dispatch_id 0
		.amdhsa_user_sgpr_flat_scratch_init 0
		.amdhsa_user_sgpr_private_segment_size 0
		.amdhsa_uses_dynamic_stack 0
		.amdhsa_system_sgpr_private_segment_wavefront_offset 0
		.amdhsa_system_sgpr_workgroup_id_x 1
		.amdhsa_system_sgpr_workgroup_id_y 1
		.amdhsa_system_sgpr_workgroup_id_z 0
		.amdhsa_system_sgpr_workgroup_info 0
		.amdhsa_system_vgpr_workitem_id 0
		.amdhsa_next_free_vgpr 21
		.amdhsa_next_free_sgpr 27
		.amdhsa_reserve_vcc 1
		.amdhsa_reserve_flat_scratch 0
		.amdhsa_float_round_mode_32 0
		.amdhsa_float_round_mode_16_64 0
		.amdhsa_float_denorm_mode_32 3
		.amdhsa_float_denorm_mode_16_64 3
		.amdhsa_dx10_clamp 1
		.amdhsa_ieee_mode 1
		.amdhsa_fp16_overflow 0
		.amdhsa_exception_fp_ieee_invalid_op 0
		.amdhsa_exception_fp_denorm_src 0
		.amdhsa_exception_fp_ieee_div_zero 0
		.amdhsa_exception_fp_ieee_overflow 0
		.amdhsa_exception_fp_ieee_underflow 0
		.amdhsa_exception_fp_ieee_inexact 0
		.amdhsa_exception_int_div_zero 0
	.end_amdhsa_kernel
	.section	.text._ZN9rocsparseL37gtsv_nopivot_pcr_pow2_stage1_n_kernelILj256E21rocsparse_complex_numIfEEEviiiiPKT0_S5_S5_S5_PS3_S6_S6_S6_,"axG",@progbits,_ZN9rocsparseL37gtsv_nopivot_pcr_pow2_stage1_n_kernelILj256E21rocsparse_complex_numIfEEEviiiiPKT0_S5_S5_S5_PS3_S6_S6_S6_,comdat
.Lfunc_end67:
	.size	_ZN9rocsparseL37gtsv_nopivot_pcr_pow2_stage1_n_kernelILj256E21rocsparse_complex_numIfEEEviiiiPKT0_S5_S5_S5_PS3_S6_S6_S6_, .Lfunc_end67-_ZN9rocsparseL37gtsv_nopivot_pcr_pow2_stage1_n_kernelILj256E21rocsparse_complex_numIfEEEviiiiPKT0_S5_S5_S5_PS3_S6_S6_S6_
                                        ; -- End function
	.set _ZN9rocsparseL37gtsv_nopivot_pcr_pow2_stage1_n_kernelILj256E21rocsparse_complex_numIfEEEviiiiPKT0_S5_S5_S5_PS3_S6_S6_S6_.num_vgpr, 21
	.set _ZN9rocsparseL37gtsv_nopivot_pcr_pow2_stage1_n_kernelILj256E21rocsparse_complex_numIfEEEviiiiPKT0_S5_S5_S5_PS3_S6_S6_S6_.num_agpr, 0
	.set _ZN9rocsparseL37gtsv_nopivot_pcr_pow2_stage1_n_kernelILj256E21rocsparse_complex_numIfEEEviiiiPKT0_S5_S5_S5_PS3_S6_S6_S6_.numbered_sgpr, 27
	.set _ZN9rocsparseL37gtsv_nopivot_pcr_pow2_stage1_n_kernelILj256E21rocsparse_complex_numIfEEEviiiiPKT0_S5_S5_S5_PS3_S6_S6_S6_.num_named_barrier, 0
	.set _ZN9rocsparseL37gtsv_nopivot_pcr_pow2_stage1_n_kernelILj256E21rocsparse_complex_numIfEEEviiiiPKT0_S5_S5_S5_PS3_S6_S6_S6_.private_seg_size, 0
	.set _ZN9rocsparseL37gtsv_nopivot_pcr_pow2_stage1_n_kernelILj256E21rocsparse_complex_numIfEEEviiiiPKT0_S5_S5_S5_PS3_S6_S6_S6_.uses_vcc, 1
	.set _ZN9rocsparseL37gtsv_nopivot_pcr_pow2_stage1_n_kernelILj256E21rocsparse_complex_numIfEEEviiiiPKT0_S5_S5_S5_PS3_S6_S6_S6_.uses_flat_scratch, 0
	.set _ZN9rocsparseL37gtsv_nopivot_pcr_pow2_stage1_n_kernelILj256E21rocsparse_complex_numIfEEEviiiiPKT0_S5_S5_S5_PS3_S6_S6_S6_.has_dyn_sized_stack, 0
	.set _ZN9rocsparseL37gtsv_nopivot_pcr_pow2_stage1_n_kernelILj256E21rocsparse_complex_numIfEEEviiiiPKT0_S5_S5_S5_PS3_S6_S6_S6_.has_recursion, 0
	.set _ZN9rocsparseL37gtsv_nopivot_pcr_pow2_stage1_n_kernelILj256E21rocsparse_complex_numIfEEEviiiiPKT0_S5_S5_S5_PS3_S6_S6_S6_.has_indirect_call, 0
	.section	.AMDGPU.csdata,"",@progbits
; Kernel info:
; codeLenInByte = 852
; TotalNumSgprs: 31
; NumVgprs: 21
; ScratchSize: 0
; MemoryBound: 0
; FloatMode: 240
; IeeeMode: 1
; LDSByteSize: 0 bytes/workgroup (compile time only)
; SGPRBlocks: 3
; VGPRBlocks: 5
; NumSGPRsForWavesPerEU: 31
; NumVGPRsForWavesPerEU: 21
; Occupancy: 10
; WaveLimiterHint : 0
; COMPUTE_PGM_RSRC2:SCRATCH_EN: 0
; COMPUTE_PGM_RSRC2:USER_SGPR: 6
; COMPUTE_PGM_RSRC2:TRAP_HANDLER: 0
; COMPUTE_PGM_RSRC2:TGID_X_EN: 1
; COMPUTE_PGM_RSRC2:TGID_Y_EN: 1
; COMPUTE_PGM_RSRC2:TGID_Z_EN: 0
; COMPUTE_PGM_RSRC2:TIDIG_COMP_CNT: 0
	.section	.text._ZN9rocsparseL34gtsv_nopivot_cr_pow2_stage2_kernelILj256E21rocsparse_complex_numIfEEEviiiPKT0_S5_S5_S5_PS3_,"axG",@progbits,_ZN9rocsparseL34gtsv_nopivot_cr_pow2_stage2_kernelILj256E21rocsparse_complex_numIfEEEviiiPKT0_S5_S5_S5_PS3_,comdat
	.globl	_ZN9rocsparseL34gtsv_nopivot_cr_pow2_stage2_kernelILj256E21rocsparse_complex_numIfEEEviiiPKT0_S5_S5_S5_PS3_ ; -- Begin function _ZN9rocsparseL34gtsv_nopivot_cr_pow2_stage2_kernelILj256E21rocsparse_complex_numIfEEEviiiPKT0_S5_S5_S5_PS3_
	.p2align	8
	.type	_ZN9rocsparseL34gtsv_nopivot_cr_pow2_stage2_kernelILj256E21rocsparse_complex_numIfEEEviiiPKT0_S5_S5_S5_PS3_,@function
_ZN9rocsparseL34gtsv_nopivot_cr_pow2_stage2_kernelILj256E21rocsparse_complex_numIfEEEviiiPKT0_S5_S5_S5_PS3_: ; @_ZN9rocsparseL34gtsv_nopivot_cr_pow2_stage2_kernelILj256E21rocsparse_complex_numIfEEEviiiPKT0_S5_S5_S5_PS3_
; %bb.0:
	s_load_dword s0, s[4:5], 0x38
	s_load_dwordx8 s[8:15], s[4:5], 0x10
	v_mov_b32_e32 v2, 0
	s_load_dword s1, s[4:5], 0x0
	s_load_dwordx2 s[2:3], s[4:5], 0x30
	s_waitcnt lgkmcnt(0)
	v_mul_lo_u32 v1, s0, v0
	v_mov_b32_e32 v16, s9
	v_mov_b32_e32 v18, s11
	s_mul_i32 s1, s1, s7
	v_add_u32_e32 v1, s6, v1
	v_lshlrev_b64 v[3:4], 3, v[1:2]
	v_mov_b32_e32 v21, s15
	v_add_co_u32_e32 v5, vcc, s8, v3
	v_addc_co_u32_e32 v6, vcc, v16, v4, vcc
	global_load_dwordx2 v[7:8], v[5:6], off
	v_add_co_u32_e32 v5, vcc, s10, v3
	v_addc_co_u32_e32 v6, vcc, v18, v4, vcc
	global_load_dwordx2 v[9:10], v[5:6], off
	v_mov_b32_e32 v6, s13
	v_add_co_u32_e32 v3, vcc, s12, v3
	v_addc_co_u32_e32 v4, vcc, v6, v4, vcc
	global_load_dwordx2 v[11:12], v[3:4], off
	v_add_u32_e32 v3, s1, v1
	v_mov_b32_e32 v4, v2
	v_lshlrev_b64 v[3:4], 3, v[3:4]
	s_mov_b32 s6, 8
	v_add_co_u32_e32 v3, vcc, s14, v3
	v_addc_co_u32_e32 v4, vcc, v21, v4, vcc
	global_load_dwordx2 v[13:14], v[3:4], off
	v_lshl_add_u32 v3, s0, 8, v1
	v_mov_b32_e32 v4, v2
	v_lshlrev_b64 v[4:5], 3, v[3:4]
	s_mov_b32 s0, 0
	v_add_co_u32_e32 v15, vcc, s8, v4
	v_addc_co_u32_e32 v16, vcc, v16, v5, vcc
	v_add_co_u32_e32 v17, vcc, s10, v4
	v_addc_co_u32_e32 v18, vcc, v18, v5, vcc
	;; [unrolled: 2-line block ×3, first 2 shown]
	global_load_dwordx2 v[19:20], v[4:5], off
	v_add_u32_e32 v4, s1, v3
	v_mov_b32_e32 v5, v2
	v_lshlrev_b64 v[4:5], 3, v[4:5]
	global_load_dwordx2 v[15:16], v[15:16], off
	v_add_co_u32_e32 v4, vcc, s14, v4
	global_load_dwordx2 v[17:18], v[17:18], off
	v_addc_co_u32_e32 v5, vcc, v21, v5, vcc
	global_load_dwordx2 v[21:22], v[4:5], off
	s_mov_b32 s1, s0
	v_lshlrev_b32_e32 v6, 3, v0
	v_mov_b32_e32 v24, s1
	s_mov_b32 s10, 1
	v_add_u32_e32 v4, 1, v0
	v_or_b32_e32 v2, 0x3000, v6
	v_mov_b32_e32 v23, s0
	s_movk_i32 s11, 0x100
	ds_write2st64_b64 v6, v[23:24], v[23:24] offset0:24 offset1:28
	s_waitcnt vmcnt(2)
	ds_write2st64_b64 v6, v[7:8], v[15:16] offset1:4
	s_waitcnt vmcnt(1)
	ds_write2st64_b64 v6, v[9:10], v[17:18] offset0:8 offset1:12
	ds_write2st64_b64 v6, v[11:12], v[19:20] offset0:16 offset1:20
	s_waitcnt vmcnt(0)
	ds_write2st64_b64 v6, v[13:14], v[21:22] offset0:32 offset1:36
	s_waitcnt lgkmcnt(0)
	s_barrier
	s_branch .LBB68_2
.LBB68_1:                               ;   in Loop: Header=BB68_2 Depth=1
	s_or_b64 exec, exec, s[8:9]
	s_lshr_b32 s11, s11, 1
	s_add_i32 s6, s6, -1
	s_cmp_eq_u32 s6, 0
	s_waitcnt lgkmcnt(0)
	s_barrier
	s_cbranch_scc1 .LBB68_4
.LBB68_2:                               ; =>This Inner Loop Header: Depth=1
	s_lshl_b32 s10, s10, 1
	v_cmp_gt_u32_e32 vcc, s11, v0
	s_and_saveexec_b64 s[8:9], vcc
	s_cbranch_execz .LBB68_1
; %bb.3:                                ;   in Loop: Header=BB68_2 Depth=1
	v_mad_u64_u32 v[15:16], s[0:1], s10, v4, -1
	s_ashr_i32 s0, s10, 1
	v_subrev_u32_e32 v5, s0, v15
	v_add_u32_e32 v11, s0, v15
	v_lshlrev_b32_e32 v5, 3, v5
	v_min_u32_e32 v11, 0x1ff, v11
	ds_read2st64_b64 v[7:10], v5 offset1:8
	v_lshlrev_b32_e32 v27, 3, v11
	ds_read2st64_b64 v[11:14], v27 offset1:8
	v_lshlrev_b32_e32 v30, 3, v15
	ds_read2st64_b64 v[15:18], v30 offset1:8
	s_waitcnt lgkmcnt(2)
	v_mul_f32_e32 v28, v10, v10
	v_fmac_f32_e32 v28, v9, v9
	s_waitcnt lgkmcnt(1)
	v_mul_f32_e32 v29, v14, v14
	v_div_scale_f32 v19, s[0:1], v28, v28, 1.0
	v_fmac_f32_e32 v29, v13, v13
	v_div_scale_f32 v20, s[0:1], v29, v29, 1.0
	v_div_scale_f32 v21, vcc, 1.0, v28, 1.0
	v_div_scale_f32 v22, s[0:1], 1.0, v29, 1.0
	v_rcp_f32_e32 v23, v19
	v_rcp_f32_e32 v24, v20
	v_fma_f32 v25, -v19, v23, 1.0
	v_fmac_f32_e32 v23, v25, v23
	v_mul_f32_e32 v26, v21, v23
	v_fma_f32 v25, -v20, v24, 1.0
	v_fmac_f32_e32 v24, v25, v24
	v_fma_f32 v25, -v19, v26, v21
	v_mul_f32_e32 v31, v22, v24
	v_fmac_f32_e32 v26, v25, v23
	v_fma_f32 v25, -v20, v31, v22
	v_fma_f32 v19, -v19, v26, v21
	v_fmac_f32_e32 v31, v25, v24
	v_div_fmas_f32 v32, v19, v23, v26
	v_fma_f32 v19, -v20, v31, v22
	s_mov_b64 vcc, s[0:1]
	v_div_fmas_f32 v31, v19, v24, v31
	ds_read2st64_b64 v[19:22], v30 offset0:16 offset1:32
	ds_read2st64_b64 v[23:26], v5 offset0:16 offset1:32
	s_waitcnt lgkmcnt(2)
	v_mul_f32_e32 v5, v10, v16
	v_mul_f32_e64 v10, v10, -v15
	v_fmac_f32_e32 v5, v15, v9
	v_fmac_f32_e32 v10, v16, v9
	s_waitcnt lgkmcnt(1)
	v_mul_f32_e32 v9, v14, v20
	v_mul_f32_e64 v14, v14, -v19
	v_fmac_f32_e32 v9, v19, v13
	v_fmac_f32_e32 v14, v20, v13
	v_div_fixup_f32 v13, v32, v28, 1.0
	v_mul_f32_e32 v16, v10, v13
	v_mul_f32_e32 v5, v13, v5
	v_div_fixup_f32 v10, v31, v29, 1.0
	v_mul_f32_e32 v20, v14, v10
	v_mul_f32_e32 v19, v10, v9
	s_waitcnt lgkmcnt(0)
	v_mul_f32_e64 v9, v16, -v24
	v_mul_f32_e32 v10, v16, v23
	v_mul_f32_e64 v13, v20, -v12
	v_fmac_f32_e32 v9, v23, v5
	v_fmac_f32_e32 v10, v24, v5
	;; [unrolled: 1-line block ×3, first 2 shown]
	v_mul_f32_e32 v11, v20, v11
	v_sub_f32_e32 v9, v17, v9
	v_sub_f32_e32 v10, v18, v10
	v_fmac_f32_e32 v11, v12, v19
	v_sub_f32_e32 v13, v9, v13
	v_sub_f32_e32 v14, v10, v11
	ds_read2st64_b64 v[9:12], v27 offset0:16 offset1:32
	v_mul_f32_e64 v15, v16, -v26
	v_fmac_f32_e32 v15, v25, v5
	v_sub_f32_e32 v15, v21, v15
	v_mul_f32_e32 v17, v16, v25
	s_waitcnt lgkmcnt(0)
	v_mul_f32_e64 v18, v20, -v12
	v_fmac_f32_e32 v18, v11, v19
	v_mul_f32_e32 v21, v20, v11
	v_sub_f32_e32 v11, v15, v18
	v_mul_f32_e32 v15, v16, v8
	v_fma_f32 v15, -v7, v5, v15
	v_mul_f32_e64 v7, v16, -v7
	v_fmac_f32_e32 v17, v26, v5
	v_fma_f32 v16, -v8, v5, v7
	v_mul_f32_e32 v5, v20, v10
	v_sub_f32_e32 v17, v22, v17
	v_fmac_f32_e32 v21, v12, v19
	v_fma_f32 v7, -v9, v19, v5
	v_mul_f32_e64 v5, v20, -v9
	v_sub_f32_e32 v12, v17, v21
	v_fma_f32 v8, -v10, v19, v5
	ds_write2st64_b64 v30, v[15:16], v[13:14] offset1:8
	ds_write2st64_b64 v30, v[7:8], v[11:12] offset0:16 offset1:32
	s_branch .LBB68_1
.LBB68_4:
	v_cmp_ne_u32_e64 s[0:1], 0, v0
	v_cmp_eq_u32_e32 vcc, 0, v0
	s_and_saveexec_b64 s[8:9], vcc
	s_cbranch_execz .LBB68_6
; %bb.5:
	s_movk_i32 s6, 0x1f8
	v_add_u32_e64 v19, s6, 0
	ds_read2st64_b64 v[7:10], v19 offset0:15 offset1:19
	ds_read2st64_b64 v[11:14], v19 offset0:7 offset1:11
	s_waitcnt lgkmcnt(0)
	v_mul_f32_e32 v5, v14, v7
	v_mul_f32_e32 v16, v12, v9
	v_mul_f32_e64 v4, v14, -v8
	v_mul_f32_e64 v15, v12, -v10
	v_fmac_f32_e32 v5, v8, v13
	v_fmac_f32_e32 v16, v10, v11
	v_fmac_f32_e32 v4, v7, v13
	v_fmac_f32_e32 v15, v9, v11
	v_sub_f32_e32 v5, v5, v16
	v_sub_f32_e32 v4, v4, v15
	v_mul_f32_e32 v20, v5, v5
	v_fmac_f32_e32 v20, v4, v4
	v_div_scale_f32 v21, s[10:11], v20, v20, 1.0
	v_div_scale_f32 v22, vcc, 1.0, v20, 1.0
	ds_read2st64_b64 v[15:18], v19 offset0:35 offset1:39
	s_waitcnt lgkmcnt(0)
	v_mul_f32_e64 v23, v16, -v8
	v_mul_f32_e32 v24, v16, v7
	v_mul_f32_e64 v25, v18, -v10
	v_mul_f32_e32 v27, v18, v9
	;; [unrolled: 2-line block ×3, first 2 shown]
	v_fmac_f32_e32 v23, v7, v15
	v_rcp_f32_e32 v26, v21
	v_fmac_f32_e32 v24, v8, v15
	v_fmac_f32_e32 v25, v9, v17
	;; [unrolled: 1-line block ×3, first 2 shown]
	v_fma_f32 v29, -v21, v26, 1.0
	v_fmac_f32_e32 v26, v29, v26
	v_mul_f32_e32 v29, v22, v26
	v_fma_f32 v30, -v21, v29, v22
	v_fmac_f32_e32 v29, v30, v26
	v_fma_f32 v21, -v21, v29, v22
	v_div_fmas_f32 v21, v21, v26, v29
	v_mul_f32_e64 v22, v12, -v16
	v_mul_f32_e32 v12, v12, v15
	v_fma_f32 v10, 0, v5, v4
	v_fma_f32 v4, v4, 0, -v5
	v_fmac_f32_e32 v28, v17, v13
	v_fmac_f32_e32 v14, v18, v13
	;; [unrolled: 1-line block ×4, first 2 shown]
	v_sub_f32_e32 v7, v23, v25
	v_sub_f32_e32 v8, v24, v27
	;; [unrolled: 1-line block ×4, first 2 shown]
	v_div_fixup_f32 v5, v21, v20, 1.0
	v_mul_f32_e32 v11, v4, v5
	v_mul_f32_e32 v10, v10, v5
	v_mul_f32_e64 v4, v11, -v8
	v_mul_f32_e32 v5, v11, v7
	v_fmac_f32_e32 v4, v7, v10
	v_fmac_f32_e32 v5, v8, v10
	v_mul_f32_e64 v7, v11, -v12
	v_mul_f32_e32 v8, v11, v9
	v_fmac_f32_e32 v7, v9, v10
	v_fmac_f32_e32 v8, v12, v10
	ds_write2st64_b64 v19, v[4:5], v[7:8] offset0:27 offset1:31
.LBB68_6:
	s_or_b64 exec, exec, s[8:9]
	v_cmp_gt_u32_e32 vcc, 2, v0
	s_waitcnt lgkmcnt(0)
	s_barrier
	s_and_saveexec_b64 s[8:9], vcc
	s_cbranch_execz .LBB68_12
; %bb.7:
	v_lshlrev_b32_e32 v4, 8, v0
	v_mov_b32_e32 v5, 0x4000
	v_lshl_add_u32 v8, v0, 11, v5
	v_lshlrev_b32_e32 v7, 3, v4
                                        ; implicit-def: $vgpr5
	s_and_saveexec_b64 s[10:11], s[0:1]
	s_xor_b64 s[10:11], exec, s[10:11]
	s_cbranch_execz .LBB68_9
; %bb.8:
	v_add_u32_e32 v4, 0x1f8, v7
	ds_read2st64_b64 v[9:12], v4 offset0:1 offset1:9
	ds_read2st64_b64 v[13:16], v4 offset0:17 offset1:23
	ds_read_b64 v[4:5], v8 offset:1016
	ds_read_b64 v[17:18], v7 offset:14328
	s_waitcnt lgkmcnt(3)
	v_mul_f32_e32 v19, v12, v12
	v_fmac_f32_e32 v19, v11, v11
	v_div_scale_f32 v20, s[12:13], v19, v19, 1.0
	v_div_scale_f32 v21, vcc, 1.0, v19, 1.0
	s_waitcnt lgkmcnt(2)
	v_mul_f32_e64 v8, v16, -v10
	v_mul_f32_e32 v16, v16, v9
	v_fmac_f32_e32 v8, v9, v15
	v_fmac_f32_e32 v16, v10, v15
	s_waitcnt lgkmcnt(1)
	v_sub_f32_e32 v4, v4, v8
	v_sub_f32_e32 v5, v5, v16
	v_rcp_f32_e32 v22, v20
	v_fma_f32 v23, -v20, v22, 1.0
	v_fmac_f32_e32 v22, v23, v22
	v_mul_f32_e32 v23, v21, v22
	v_fma_f32 v24, -v20, v23, v21
	v_fmac_f32_e32 v23, v24, v22
	v_fma_f32 v20, -v20, v23, v21
	v_div_fmas_f32 v20, v20, v22, v23
	s_waitcnt lgkmcnt(0)
	v_mul_f32_e64 v21, v18, -v14
	v_mul_f32_e32 v18, v18, v13
	v_fmac_f32_e32 v21, v13, v17
	v_fmac_f32_e32 v18, v14, v17
	v_sub_f32_e32 v4, v4, v21
	v_sub_f32_e32 v5, v5, v18
	v_mul_f32_e32 v8, v12, v5
	v_mul_f32_e64 v9, v12, -v4
	v_fmac_f32_e32 v8, v4, v11
	v_fmac_f32_e32 v9, v5, v11
	v_div_fixup_f32 v5, v20, v19, 1.0
	v_mul_f32_e32 v4, v5, v8
	v_mul_f32_e32 v5, v5, v9
                                        ; implicit-def: $vgpr8
.LBB68_9:
	s_andn2_saveexec_b64 s[10:11], s[10:11]
	s_cbranch_execz .LBB68_11
; %bb.10:
	v_add_u32_e32 v4, 0x1f8, v7
	ds_read2st64_b64 v[9:12], v4 offset0:9 offset1:17
	s_waitcnt lgkmcnt(0)
	v_mul_f32_e32 v15, v10, v10
	v_fmac_f32_e32 v15, v9, v9
	v_div_scale_f32 v4, s[12:13], v15, v15, 1.0
	v_div_scale_f32 v5, vcc, 1.0, v15, 1.0
	v_rcp_f32_e32 v13, v4
	v_fma_f32 v14, -v4, v13, 1.0
	v_fmac_f32_e32 v13, v14, v13
	v_mul_f32_e32 v14, v5, v13
	v_fma_f32 v16, -v4, v14, v5
	v_fmac_f32_e32 v14, v16, v13
	v_fma_f32 v4, -v4, v14, v5
	v_div_fmas_f32 v16, v4, v13, v14
	ds_read_b64 v[4:5], v7 offset:14328
	ds_read_b64 v[13:14], v8 offset:1016
	s_waitcnt lgkmcnt(1)
	v_mul_f32_e64 v8, v5, -v12
	v_mul_f32_e32 v5, v5, v11
	v_fmac_f32_e32 v8, v11, v4
	v_fmac_f32_e32 v5, v12, v4
	s_waitcnt lgkmcnt(0)
	v_sub_f32_e32 v4, v13, v8
	v_sub_f32_e32 v5, v14, v5
	v_mul_f32_e32 v8, v10, v5
	v_mul_f32_e64 v10, v10, -v4
	v_fmac_f32_e32 v8, v4, v9
	v_fmac_f32_e32 v10, v5, v9
	v_div_fixup_f32 v5, v16, v15, 1.0
	v_mul_f32_e32 v4, v5, v8
	v_mul_f32_e32 v5, v10, v5
.LBB68_11:
	s_or_b64 exec, exec, s[10:11]
	ds_write_b64 v7, v[4:5] offset:13304
.LBB68_12:
	s_or_b64 exec, exec, s[8:9]
	v_cmp_gt_u32_e32 vcc, 4, v0
	s_waitcnt lgkmcnt(0)
	s_barrier
	s_and_saveexec_b64 s[8:9], vcc
	s_cbranch_execz .LBB68_18
; %bb.13:
	v_lshlrev_b32_e32 v4, 7, v0
	v_mov_b32_e32 v5, 0x4000
	v_lshl_add_u32 v8, v0, 10, v5
	v_lshlrev_b32_e32 v7, 3, v4
                                        ; implicit-def: $vgpr5
	s_and_saveexec_b64 s[10:11], s[0:1]
	s_xor_b64 s[10:11], exec, s[10:11]
	s_cbranch_execz .LBB68_15
; %bb.14:
	v_add_u32_e32 v4, 0x1f8, v7
	ds_read2st64_b64 v[9:12], v4 offset1:8
	ds_read2st64_b64 v[13:16], v4 offset0:16 offset1:23
	ds_read_b64 v[4:5], v8 offset:504
	ds_read_b64 v[17:18], v7 offset:13304
	s_waitcnt lgkmcnt(3)
	v_mul_f32_e32 v19, v12, v12
	v_fmac_f32_e32 v19, v11, v11
	v_div_scale_f32 v20, s[12:13], v19, v19, 1.0
	v_div_scale_f32 v21, vcc, 1.0, v19, 1.0
	s_waitcnt lgkmcnt(2)
	v_mul_f32_e64 v8, v16, -v10
	v_mul_f32_e32 v16, v16, v9
	v_fmac_f32_e32 v8, v9, v15
	v_fmac_f32_e32 v16, v10, v15
	s_waitcnt lgkmcnt(1)
	v_sub_f32_e32 v4, v4, v8
	v_sub_f32_e32 v5, v5, v16
	v_rcp_f32_e32 v22, v20
	v_fma_f32 v23, -v20, v22, 1.0
	v_fmac_f32_e32 v22, v23, v22
	v_mul_f32_e32 v23, v21, v22
	v_fma_f32 v24, -v20, v23, v21
	v_fmac_f32_e32 v23, v24, v22
	v_fma_f32 v20, -v20, v23, v21
	v_div_fmas_f32 v20, v20, v22, v23
	s_waitcnt lgkmcnt(0)
	v_mul_f32_e64 v21, v18, -v14
	v_mul_f32_e32 v18, v18, v13
	v_fmac_f32_e32 v21, v13, v17
	v_fmac_f32_e32 v18, v14, v17
	v_sub_f32_e32 v4, v4, v21
	v_sub_f32_e32 v5, v5, v18
	v_mul_f32_e32 v8, v12, v5
	v_mul_f32_e64 v9, v12, -v4
	v_fmac_f32_e32 v8, v4, v11
	v_fmac_f32_e32 v9, v5, v11
	v_div_fixup_f32 v5, v20, v19, 1.0
	v_mul_f32_e32 v4, v5, v8
	v_mul_f32_e32 v5, v5, v9
                                        ; implicit-def: $vgpr8
.LBB68_15:
	s_andn2_saveexec_b64 s[10:11], s[10:11]
	s_cbranch_execz .LBB68_17
; %bb.16:
	v_add_u32_e32 v4, 0x1f8, v7
	ds_read2st64_b64 v[9:12], v4 offset0:8 offset1:16
	s_waitcnt lgkmcnt(0)
	v_mul_f32_e32 v15, v10, v10
	v_fmac_f32_e32 v15, v9, v9
	v_div_scale_f32 v4, s[12:13], v15, v15, 1.0
	v_div_scale_f32 v5, vcc, 1.0, v15, 1.0
	v_rcp_f32_e32 v13, v4
	v_fma_f32 v14, -v4, v13, 1.0
	v_fmac_f32_e32 v13, v14, v13
	v_mul_f32_e32 v14, v5, v13
	v_fma_f32 v16, -v4, v14, v5
	v_fmac_f32_e32 v14, v16, v13
	v_fma_f32 v4, -v4, v14, v5
	v_div_fmas_f32 v16, v4, v13, v14
	ds_read_b64 v[4:5], v7 offset:13304
	ds_read_b64 v[13:14], v8 offset:504
	s_waitcnt lgkmcnt(1)
	v_mul_f32_e64 v8, v5, -v12
	v_mul_f32_e32 v5, v5, v11
	v_fmac_f32_e32 v8, v11, v4
	v_fmac_f32_e32 v5, v12, v4
	s_waitcnt lgkmcnt(0)
	v_sub_f32_e32 v4, v13, v8
	v_sub_f32_e32 v5, v14, v5
	v_mul_f32_e32 v8, v10, v5
	v_mul_f32_e64 v10, v10, -v4
	v_fmac_f32_e32 v8, v4, v9
	v_fmac_f32_e32 v10, v5, v9
	v_div_fixup_f32 v5, v16, v15, 1.0
	v_mul_f32_e32 v4, v5, v8
	v_mul_f32_e32 v5, v10, v5
.LBB68_17:
	s_or_b64 exec, exec, s[10:11]
	ds_write_b64 v7, v[4:5] offset:12792
.LBB68_18:
	s_or_b64 exec, exec, s[8:9]
	v_cmp_gt_u32_e32 vcc, 8, v0
	s_waitcnt lgkmcnt(0)
	s_barrier
	s_and_saveexec_b64 s[8:9], vcc
	s_cbranch_execz .LBB68_24
; %bb.19:
	v_lshlrev_b32_e32 v4, 6, v0
	v_mov_b32_e32 v5, 0x4000
	v_lshl_add_u32 v8, v0, 9, v5
	v_lshlrev_b32_e32 v7, 3, v4
                                        ; implicit-def: $vgpr5
	s_and_saveexec_b64 s[10:11], s[0:1]
	s_xor_b64 s[10:11], exec, s[10:11]
	s_cbranch_execz .LBB68_21
; %bb.20:
	v_add_u32_e32 v4, 0xf8, v7
	ds_read2st64_b64 v[9:12], v4 offset1:8
	v_add_u32_e32 v4, 0x1f8, v7
	ds_read2st64_b64 v[13:16], v4 offset0:23 offset1:24
	ds_read_b64 v[4:5], v8 offset:248
	ds_read_b64 v[17:18], v7 offset:8440
	s_waitcnt lgkmcnt(3)
	v_mul_f32_e32 v19, v12, v12
	v_fmac_f32_e32 v19, v11, v11
	v_div_scale_f32 v20, s[12:13], v19, v19, 1.0
	v_div_scale_f32 v21, vcc, 1.0, v19, 1.0
	s_waitcnt lgkmcnt(2)
	v_mul_f32_e64 v8, v14, -v10
	v_mul_f32_e32 v14, v14, v9
	v_fmac_f32_e32 v8, v9, v13
	v_fmac_f32_e32 v14, v10, v13
	s_waitcnt lgkmcnt(1)
	v_sub_f32_e32 v4, v4, v8
	v_sub_f32_e32 v5, v5, v14
	v_rcp_f32_e32 v22, v20
	v_fma_f32 v23, -v20, v22, 1.0
	v_fmac_f32_e32 v22, v23, v22
	v_mul_f32_e32 v23, v21, v22
	v_fma_f32 v24, -v20, v23, v21
	v_fmac_f32_e32 v23, v24, v22
	v_fma_f32 v20, -v20, v23, v21
	v_div_fmas_f32 v20, v20, v22, v23
	s_waitcnt lgkmcnt(0)
	v_mul_f32_e64 v21, v16, -v18
	v_mul_f32_e32 v16, v16, v17
	v_fmac_f32_e32 v21, v17, v15
	v_fmac_f32_e32 v16, v18, v15
	v_sub_f32_e32 v4, v4, v21
	v_sub_f32_e32 v5, v5, v16
	v_mul_f32_e32 v8, v12, v5
	v_mul_f32_e64 v9, v12, -v4
	v_fmac_f32_e32 v8, v4, v11
	v_fmac_f32_e32 v9, v5, v11
	v_div_fixup_f32 v5, v20, v19, 1.0
	v_mul_f32_e32 v4, v5, v8
	v_mul_f32_e32 v5, v5, v9
                                        ; implicit-def: $vgpr8
.LBB68_21:
	s_andn2_saveexec_b64 s[10:11], s[10:11]
	s_cbranch_execz .LBB68_23
; %bb.22:
	v_add_u32_e32 v4, 0xf8, v7
	ds_read2st64_b64 v[9:12], v4 offset0:8 offset1:16
	s_waitcnt lgkmcnt(0)
	v_mul_f32_e32 v15, v10, v10
	v_fmac_f32_e32 v15, v9, v9
	v_div_scale_f32 v4, s[12:13], v15, v15, 1.0
	v_div_scale_f32 v5, vcc, 1.0, v15, 1.0
	v_rcp_f32_e32 v13, v4
	v_fma_f32 v14, -v4, v13, 1.0
	v_fmac_f32_e32 v13, v14, v13
	v_mul_f32_e32 v14, v5, v13
	v_fma_f32 v16, -v4, v14, v5
	v_fmac_f32_e32 v14, v16, v13
	v_fma_f32 v4, -v4, v14, v5
	v_div_fmas_f32 v16, v4, v13, v14
	ds_read_b64 v[4:5], v7 offset:12792
	ds_read_b64 v[13:14], v8 offset:248
	s_waitcnt lgkmcnt(1)
	v_mul_f32_e64 v8, v5, -v12
	v_mul_f32_e32 v5, v5, v11
	v_fmac_f32_e32 v8, v11, v4
	v_fmac_f32_e32 v5, v12, v4
	s_waitcnt lgkmcnt(0)
	v_sub_f32_e32 v4, v13, v8
	v_sub_f32_e32 v5, v14, v5
	v_mul_f32_e32 v8, v10, v5
	v_mul_f32_e64 v10, v10, -v4
	v_fmac_f32_e32 v8, v4, v9
	v_fmac_f32_e32 v10, v5, v9
	v_div_fixup_f32 v5, v16, v15, 1.0
	v_mul_f32_e32 v4, v5, v8
	v_mul_f32_e32 v5, v10, v5
.LBB68_23:
	s_or_b64 exec, exec, s[10:11]
	ds_write_b64 v7, v[4:5] offset:12536
.LBB68_24:
	s_or_b64 exec, exec, s[8:9]
	v_cmp_gt_u32_e32 vcc, 16, v0
	s_waitcnt lgkmcnt(0)
	s_barrier
	s_and_saveexec_b64 s[8:9], vcc
	s_cbranch_execz .LBB68_30
; %bb.25:
	v_lshlrev_b32_e32 v4, 5, v0
	v_mov_b32_e32 v5, 0x4000
	v_lshl_add_u32 v8, v0, 8, v5
	v_lshlrev_b32_e32 v7, 3, v4
                                        ; implicit-def: $vgpr5
	s_and_saveexec_b64 s[10:11], s[0:1]
	s_xor_b64 s[10:11], exec, s[10:11]
	s_cbranch_execz .LBB68_27
; %bb.26:
	v_add_u32_e32 v4, 0x78, v7
	ds_read2st64_b64 v[9:12], v4 offset1:8
	v_add_u32_e32 v4, 0x2c00, v7
	ds_read2_b64 v[13:16], v4 offset0:127 offset1:159
	ds_read_b64 v[4:5], v8 offset:120
	ds_read_b64 v[17:18], v7 offset:8312
	s_waitcnt lgkmcnt(3)
	v_mul_f32_e32 v19, v12, v12
	v_fmac_f32_e32 v19, v11, v11
	v_div_scale_f32 v20, s[12:13], v19, v19, 1.0
	v_div_scale_f32 v21, vcc, 1.0, v19, 1.0
	s_waitcnt lgkmcnt(2)
	v_mul_f32_e64 v8, v14, -v10
	v_mul_f32_e32 v14, v14, v9
	v_fmac_f32_e32 v8, v9, v13
	v_fmac_f32_e32 v14, v10, v13
	s_waitcnt lgkmcnt(1)
	v_sub_f32_e32 v4, v4, v8
	v_sub_f32_e32 v5, v5, v14
	v_rcp_f32_e32 v22, v20
	v_fma_f32 v23, -v20, v22, 1.0
	v_fmac_f32_e32 v22, v23, v22
	v_mul_f32_e32 v23, v21, v22
	v_fma_f32 v24, -v20, v23, v21
	v_fmac_f32_e32 v23, v24, v22
	v_fma_f32 v20, -v20, v23, v21
	v_div_fmas_f32 v20, v20, v22, v23
	s_waitcnt lgkmcnt(0)
	v_mul_f32_e64 v21, v16, -v18
	v_mul_f32_e32 v16, v16, v17
	v_fmac_f32_e32 v21, v17, v15
	v_fmac_f32_e32 v16, v18, v15
	v_sub_f32_e32 v4, v4, v21
	v_sub_f32_e32 v5, v5, v16
	v_mul_f32_e32 v8, v12, v5
	v_mul_f32_e64 v9, v12, -v4
	v_fmac_f32_e32 v8, v4, v11
	v_fmac_f32_e32 v9, v5, v11
	v_div_fixup_f32 v5, v20, v19, 1.0
	v_mul_f32_e32 v4, v5, v8
	v_mul_f32_e32 v5, v5, v9
                                        ; implicit-def: $vgpr8
.LBB68_27:
	s_andn2_saveexec_b64 s[10:11], s[10:11]
	s_cbranch_execz .LBB68_29
; %bb.28:
	v_add_u32_e32 v4, 0x78, v7
	ds_read2st64_b64 v[9:12], v4 offset0:8 offset1:16
	s_waitcnt lgkmcnt(0)
	v_mul_f32_e32 v15, v10, v10
	v_fmac_f32_e32 v15, v9, v9
	v_div_scale_f32 v4, s[12:13], v15, v15, 1.0
	v_div_scale_f32 v5, vcc, 1.0, v15, 1.0
	v_rcp_f32_e32 v13, v4
	v_fma_f32 v14, -v4, v13, 1.0
	v_fmac_f32_e32 v13, v14, v13
	v_mul_f32_e32 v14, v5, v13
	v_fma_f32 v16, -v4, v14, v5
	v_fmac_f32_e32 v14, v16, v13
	v_fma_f32 v4, -v4, v14, v5
	v_div_fmas_f32 v16, v4, v13, v14
	ds_read_b64 v[4:5], v7 offset:12536
	ds_read_b64 v[13:14], v8 offset:120
	s_waitcnt lgkmcnt(1)
	v_mul_f32_e64 v8, v5, -v12
	v_mul_f32_e32 v5, v5, v11
	v_fmac_f32_e32 v8, v11, v4
	v_fmac_f32_e32 v5, v12, v4
	s_waitcnt lgkmcnt(0)
	v_sub_f32_e32 v4, v13, v8
	v_sub_f32_e32 v5, v14, v5
	v_mul_f32_e32 v8, v10, v5
	v_mul_f32_e64 v10, v10, -v4
	v_fmac_f32_e32 v8, v4, v9
	v_fmac_f32_e32 v10, v5, v9
	v_div_fixup_f32 v5, v16, v15, 1.0
	v_mul_f32_e32 v4, v5, v8
	v_mul_f32_e32 v5, v10, v5
.LBB68_29:
	s_or_b64 exec, exec, s[10:11]
	ds_write_b64 v7, v[4:5] offset:12408
.LBB68_30:
	s_or_b64 exec, exec, s[8:9]
	v_cmp_gt_u32_e32 vcc, 32, v0
	s_waitcnt lgkmcnt(0)
	s_barrier
	s_and_saveexec_b64 s[8:9], vcc
	s_cbranch_execz .LBB68_36
; %bb.31:
	v_lshlrev_b32_e32 v4, 4, v0
	v_mov_b32_e32 v5, 0x4000
	v_lshl_add_u32 v8, v0, 7, v5
	v_lshlrev_b32_e32 v7, 3, v4
                                        ; implicit-def: $vgpr5
	s_and_saveexec_b64 s[10:11], s[0:1]
	s_xor_b64 s[10:11], exec, s[10:11]
	s_cbranch_execz .LBB68_33
; %bb.32:
	v_add_u32_e32 v4, 56, v7
	ds_read2st64_b64 v[9:12], v4 offset1:8
	v_add_u32_e32 v4, 0x2c00, v7
	ds_read2_b64 v[13:16], v4 offset0:127 offset1:143
	ds_read_b64 v[4:5], v8 offset:56
	ds_read_b64 v[17:18], v7 offset:8248
	s_waitcnt lgkmcnt(3)
	v_mul_f32_e32 v19, v12, v12
	v_fmac_f32_e32 v19, v11, v11
	v_div_scale_f32 v20, s[12:13], v19, v19, 1.0
	v_div_scale_f32 v21, vcc, 1.0, v19, 1.0
	s_waitcnt lgkmcnt(2)
	v_mul_f32_e64 v8, v14, -v10
	v_mul_f32_e32 v14, v14, v9
	v_fmac_f32_e32 v8, v9, v13
	v_fmac_f32_e32 v14, v10, v13
	s_waitcnt lgkmcnt(1)
	v_sub_f32_e32 v4, v4, v8
	v_sub_f32_e32 v5, v5, v14
	v_rcp_f32_e32 v22, v20
	v_fma_f32 v23, -v20, v22, 1.0
	v_fmac_f32_e32 v22, v23, v22
	v_mul_f32_e32 v23, v21, v22
	v_fma_f32 v24, -v20, v23, v21
	v_fmac_f32_e32 v23, v24, v22
	v_fma_f32 v20, -v20, v23, v21
	v_div_fmas_f32 v20, v20, v22, v23
	s_waitcnt lgkmcnt(0)
	v_mul_f32_e64 v21, v16, -v18
	v_mul_f32_e32 v16, v16, v17
	v_fmac_f32_e32 v21, v17, v15
	v_fmac_f32_e32 v16, v18, v15
	v_sub_f32_e32 v4, v4, v21
	v_sub_f32_e32 v5, v5, v16
	v_mul_f32_e32 v8, v12, v5
	v_mul_f32_e64 v9, v12, -v4
	v_fmac_f32_e32 v8, v4, v11
	v_fmac_f32_e32 v9, v5, v11
	v_div_fixup_f32 v5, v20, v19, 1.0
	v_mul_f32_e32 v4, v5, v8
	v_mul_f32_e32 v5, v5, v9
                                        ; implicit-def: $vgpr8
.LBB68_33:
	s_andn2_saveexec_b64 s[10:11], s[10:11]
	s_cbranch_execz .LBB68_35
; %bb.34:
	v_add_u32_e32 v4, 56, v7
	ds_read2st64_b64 v[9:12], v4 offset0:8 offset1:16
	s_waitcnt lgkmcnt(0)
	v_mul_f32_e32 v15, v10, v10
	v_fmac_f32_e32 v15, v9, v9
	v_div_scale_f32 v4, s[12:13], v15, v15, 1.0
	v_div_scale_f32 v5, vcc, 1.0, v15, 1.0
	v_rcp_f32_e32 v13, v4
	v_fma_f32 v14, -v4, v13, 1.0
	v_fmac_f32_e32 v13, v14, v13
	v_mul_f32_e32 v14, v5, v13
	v_fma_f32 v16, -v4, v14, v5
	v_fmac_f32_e32 v14, v16, v13
	v_fma_f32 v4, -v4, v14, v5
	v_div_fmas_f32 v16, v4, v13, v14
	ds_read_b64 v[4:5], v7 offset:12408
	ds_read_b64 v[13:14], v8 offset:56
	s_waitcnt lgkmcnt(1)
	v_mul_f32_e64 v8, v5, -v12
	v_mul_f32_e32 v5, v5, v11
	v_fmac_f32_e32 v8, v11, v4
	v_fmac_f32_e32 v5, v12, v4
	s_waitcnt lgkmcnt(0)
	v_sub_f32_e32 v4, v13, v8
	v_sub_f32_e32 v5, v14, v5
	v_mul_f32_e32 v8, v10, v5
	v_mul_f32_e64 v10, v10, -v4
	v_fmac_f32_e32 v8, v4, v9
	v_fmac_f32_e32 v10, v5, v9
	v_div_fixup_f32 v5, v16, v15, 1.0
	v_mul_f32_e32 v4, v5, v8
	v_mul_f32_e32 v5, v10, v5
.LBB68_35:
	s_or_b64 exec, exec, s[10:11]
	ds_write_b64 v7, v[4:5] offset:12344
.LBB68_36:
	s_or_b64 exec, exec, s[8:9]
	v_cmp_gt_u32_e32 vcc, 64, v0
	s_waitcnt lgkmcnt(0)
	s_barrier
	s_and_saveexec_b64 s[8:9], vcc
	s_cbranch_execz .LBB68_42
; %bb.37:
	v_mov_b32_e32 v4, 0x4000
	v_lshl_or_b32 v7, v0, 6, v4
	v_lshlrev_b32_e32 v6, 3, v6
                                        ; implicit-def: $vgpr5
	s_and_saveexec_b64 s[10:11], s[0:1]
	s_xor_b64 s[10:11], exec, s[10:11]
	s_cbranch_execz .LBB68_39
; %bb.38:
	v_add_u32_e32 v4, 24, v6
	ds_read2st64_b64 v[8:11], v4 offset1:8
	v_add_u32_e32 v4, 0x2c00, v6
	ds_read2_b64 v[12:15], v4 offset0:127 offset1:135
	ds_read_b64 v[4:5], v7 offset:24
	ds_read_b64 v[16:17], v6 offset:8216
	s_waitcnt lgkmcnt(3)
	v_mul_f32_e32 v18, v11, v11
	v_fmac_f32_e32 v18, v10, v10
	v_div_scale_f32 v19, s[12:13], v18, v18, 1.0
	v_div_scale_f32 v20, vcc, 1.0, v18, 1.0
	s_waitcnt lgkmcnt(2)
	v_mul_f32_e64 v7, v13, -v9
	v_mul_f32_e32 v13, v13, v8
	v_fmac_f32_e32 v7, v8, v12
	v_fmac_f32_e32 v13, v9, v12
	s_waitcnt lgkmcnt(1)
	v_sub_f32_e32 v4, v4, v7
	v_sub_f32_e32 v5, v5, v13
	v_rcp_f32_e32 v21, v19
	v_fma_f32 v22, -v19, v21, 1.0
	v_fmac_f32_e32 v21, v22, v21
	v_mul_f32_e32 v22, v20, v21
	v_fma_f32 v23, -v19, v22, v20
	v_fmac_f32_e32 v22, v23, v21
	v_fma_f32 v19, -v19, v22, v20
	v_div_fmas_f32 v19, v19, v21, v22
	s_waitcnt lgkmcnt(0)
	v_mul_f32_e64 v20, v15, -v17
	v_mul_f32_e32 v15, v15, v16
	v_fmac_f32_e32 v20, v16, v14
	v_fmac_f32_e32 v15, v17, v14
	v_sub_f32_e32 v4, v4, v20
	v_sub_f32_e32 v5, v5, v15
	v_mul_f32_e32 v7, v11, v5
	v_mul_f32_e64 v8, v11, -v4
	v_fmac_f32_e32 v7, v4, v10
	v_fmac_f32_e32 v8, v5, v10
	v_div_fixup_f32 v5, v19, v18, 1.0
	v_mul_f32_e32 v4, v5, v7
	v_mul_f32_e32 v5, v5, v8
                                        ; implicit-def: $vgpr7
.LBB68_39:
	s_andn2_saveexec_b64 s[10:11], s[10:11]
	s_cbranch_execz .LBB68_41
; %bb.40:
	v_add_u32_e32 v4, 24, v6
	ds_read2st64_b64 v[8:11], v4 offset0:8 offset1:16
	s_waitcnt lgkmcnt(0)
	v_mul_f32_e32 v14, v9, v9
	v_fmac_f32_e32 v14, v8, v8
	v_div_scale_f32 v4, s[12:13], v14, v14, 1.0
	v_div_scale_f32 v5, vcc, 1.0, v14, 1.0
	v_rcp_f32_e32 v12, v4
	v_fma_f32 v13, -v4, v12, 1.0
	v_fmac_f32_e32 v12, v13, v12
	v_mul_f32_e32 v13, v5, v12
	v_fma_f32 v15, -v4, v13, v5
	v_fmac_f32_e32 v13, v15, v12
	v_fma_f32 v4, -v4, v13, v5
	v_div_fmas_f32 v15, v4, v12, v13
	ds_read_b64 v[4:5], v6 offset:12344
	ds_read_b64 v[12:13], v7 offset:24
	s_waitcnt lgkmcnt(1)
	v_mul_f32_e64 v7, v5, -v11
	v_mul_f32_e32 v5, v5, v10
	v_fmac_f32_e32 v7, v10, v4
	v_fmac_f32_e32 v5, v11, v4
	s_waitcnt lgkmcnt(0)
	v_sub_f32_e32 v4, v12, v7
	v_sub_f32_e32 v5, v13, v5
	v_mul_f32_e32 v7, v9, v5
	v_mul_f32_e64 v9, v9, -v4
	v_fmac_f32_e32 v7, v4, v8
	v_fmac_f32_e32 v9, v5, v8
	v_div_fixup_f32 v5, v15, v14, 1.0
	v_mul_f32_e32 v4, v5, v7
	v_mul_f32_e32 v5, v9, v5
.LBB68_41:
	s_or_b64 exec, exec, s[10:11]
	ds_write_b64 v6, v[4:5] offset:12312
.LBB68_42:
	s_or_b64 exec, exec, s[8:9]
	s_movk_i32 s6, 0x80
	v_cmp_gt_u32_e32 vcc, s6, v0
	s_waitcnt lgkmcnt(0)
	s_barrier
	s_and_saveexec_b64 s[8:9], vcc
	s_cbranch_execz .LBB68_48
; %bb.43:
	v_lshlrev_b32_e32 v4, 2, v0
	v_mov_b32_e32 v5, 0x4000
	v_lshl_or_b32 v7, v0, 5, v5
	v_lshlrev_b32_e32 v6, 3, v4
                                        ; implicit-def: $vgpr5
	s_and_saveexec_b64 s[10:11], s[0:1]
	s_xor_b64 s[10:11], exec, s[10:11]
	s_cbranch_execz .LBB68_45
; %bb.44:
	v_add_u32_e32 v4, 8, v6
	ds_read2st64_b64 v[8:11], v4 offset1:8
	v_add_u32_e32 v4, 0x2c00, v6
	ds_read2_b64 v[12:15], v4 offset0:127 offset1:131
	ds_read_b64 v[4:5], v7 offset:8
	ds_read_b64 v[16:17], v6 offset:8200
	s_waitcnt lgkmcnt(3)
	v_mul_f32_e32 v18, v11, v11
	v_fmac_f32_e32 v18, v10, v10
	v_div_scale_f32 v19, s[12:13], v18, v18, 1.0
	v_div_scale_f32 v20, vcc, 1.0, v18, 1.0
	s_waitcnt lgkmcnt(2)
	v_mul_f32_e64 v7, v13, -v9
	v_mul_f32_e32 v13, v13, v8
	v_fmac_f32_e32 v7, v8, v12
	v_fmac_f32_e32 v13, v9, v12
	s_waitcnt lgkmcnt(1)
	v_sub_f32_e32 v4, v4, v7
	v_sub_f32_e32 v5, v5, v13
	v_rcp_f32_e32 v21, v19
	v_fma_f32 v22, -v19, v21, 1.0
	v_fmac_f32_e32 v21, v22, v21
	v_mul_f32_e32 v22, v20, v21
	v_fma_f32 v23, -v19, v22, v20
	v_fmac_f32_e32 v22, v23, v21
	v_fma_f32 v19, -v19, v22, v20
	v_div_fmas_f32 v19, v19, v21, v22
	s_waitcnt lgkmcnt(0)
	v_mul_f32_e64 v20, v15, -v17
	v_mul_f32_e32 v15, v15, v16
	v_fmac_f32_e32 v20, v16, v14
	v_fmac_f32_e32 v15, v17, v14
	v_sub_f32_e32 v4, v4, v20
	v_sub_f32_e32 v5, v5, v15
	v_mul_f32_e32 v7, v11, v5
	v_mul_f32_e64 v8, v11, -v4
	v_fmac_f32_e32 v7, v4, v10
	v_fmac_f32_e32 v8, v5, v10
	v_div_fixup_f32 v5, v19, v18, 1.0
	v_mul_f32_e32 v4, v5, v7
	v_mul_f32_e32 v5, v5, v8
                                        ; implicit-def: $vgpr7
.LBB68_45:
	s_andn2_saveexec_b64 s[10:11], s[10:11]
	s_cbranch_execz .LBB68_47
; %bb.46:
	v_add_u32_e32 v4, 8, v6
	ds_read2st64_b64 v[8:11], v4 offset0:8 offset1:16
	s_waitcnt lgkmcnt(0)
	v_mul_f32_e32 v14, v9, v9
	v_fmac_f32_e32 v14, v8, v8
	v_div_scale_f32 v4, s[12:13], v14, v14, 1.0
	v_div_scale_f32 v5, vcc, 1.0, v14, 1.0
	v_rcp_f32_e32 v12, v4
	v_fma_f32 v13, -v4, v12, 1.0
	v_fmac_f32_e32 v12, v13, v12
	v_mul_f32_e32 v13, v5, v12
	v_fma_f32 v15, -v4, v13, v5
	v_fmac_f32_e32 v13, v15, v12
	v_fma_f32 v4, -v4, v13, v5
	v_div_fmas_f32 v15, v4, v12, v13
	ds_read_b64 v[4:5], v6 offset:12312
	ds_read_b64 v[12:13], v7 offset:8
	s_waitcnt lgkmcnt(1)
	v_mul_f32_e64 v7, v5, -v11
	v_mul_f32_e32 v5, v5, v10
	v_fmac_f32_e32 v7, v10, v4
	v_fmac_f32_e32 v5, v11, v4
	s_waitcnt lgkmcnt(0)
	v_sub_f32_e32 v4, v12, v7
	v_sub_f32_e32 v5, v13, v5
	v_mul_f32_e32 v7, v9, v5
	v_mul_f32_e64 v9, v9, -v4
	v_fmac_f32_e32 v7, v4, v8
	v_fmac_f32_e32 v9, v5, v8
	v_div_fixup_f32 v5, v15, v14, 1.0
	v_mul_f32_e32 v4, v5, v7
	v_mul_f32_e32 v5, v9, v5
.LBB68_47:
	s_or_b64 exec, exec, s[10:11]
	ds_write_b64 v6, v[4:5] offset:12296
.LBB68_48:
	s_or_b64 exec, exec, s[8:9]
	s_movk_i32 s6, 0x100
	v_cmp_gt_u32_e32 vcc, s6, v0
	s_waitcnt lgkmcnt(0)
	s_barrier
	s_and_saveexec_b64 s[8:9], vcc
	s_cbranch_execz .LBB68_54
; %bb.49:
	v_lshlrev_b32_e32 v4, 1, v0
	v_mov_b32_e32 v5, 0x4000
	v_lshl_or_b32 v6, v0, 4, v5
	v_lshlrev_b32_e32 v0, 3, v4
                                        ; implicit-def: $vgpr5
	s_and_saveexec_b64 s[10:11], s[0:1]
	s_xor_b64 s[0:1], exec, s[10:11]
	s_cbranch_execz .LBB68_51
; %bb.50:
	ds_read2st64_b64 v[7:10], v0 offset1:8
	v_add_u32_e32 v4, 0x2c00, v0
	ds_read2_b64 v[11:14], v4 offset0:127 offset1:129
	ds_read_b64 v[4:5], v6
	ds_read_b64 v[15:16], v0 offset:8192
	s_waitcnt lgkmcnt(3)
	v_mul_f32_e32 v17, v10, v10
	v_fmac_f32_e32 v17, v9, v9
	v_div_scale_f32 v18, s[10:11], v17, v17, 1.0
	v_div_scale_f32 v19, vcc, 1.0, v17, 1.0
	s_waitcnt lgkmcnt(2)
	v_mul_f32_e64 v6, v12, -v8
	v_mul_f32_e32 v12, v12, v7
	v_fmac_f32_e32 v6, v7, v11
	v_fmac_f32_e32 v12, v8, v11
	s_waitcnt lgkmcnt(1)
	v_sub_f32_e32 v4, v4, v6
	v_sub_f32_e32 v5, v5, v12
	v_rcp_f32_e32 v20, v18
	v_fma_f32 v21, -v18, v20, 1.0
	v_fmac_f32_e32 v20, v21, v20
	v_mul_f32_e32 v21, v19, v20
	v_fma_f32 v22, -v18, v21, v19
	v_fmac_f32_e32 v21, v22, v20
	v_fma_f32 v18, -v18, v21, v19
	v_div_fmas_f32 v18, v18, v20, v21
	s_waitcnt lgkmcnt(0)
	v_mul_f32_e64 v19, v14, -v16
	v_mul_f32_e32 v14, v14, v15
	v_fmac_f32_e32 v19, v15, v13
	v_fmac_f32_e32 v14, v16, v13
	v_sub_f32_e32 v4, v4, v19
	v_sub_f32_e32 v5, v5, v14
	v_mul_f32_e32 v6, v10, v5
	v_mul_f32_e64 v7, v10, -v4
	v_fmac_f32_e32 v6, v4, v9
	v_fmac_f32_e32 v7, v5, v9
	v_div_fixup_f32 v5, v18, v17, 1.0
	v_mul_f32_e32 v4, v5, v6
	v_mul_f32_e32 v5, v5, v7
                                        ; implicit-def: $vgpr6
.LBB68_51:
	s_andn2_saveexec_b64 s[0:1], s[0:1]
	s_cbranch_execz .LBB68_53
; %bb.52:
	ds_read2st64_b64 v[7:10], v0 offset0:8 offset1:16
	s_waitcnt lgkmcnt(0)
	v_mul_f32_e32 v13, v8, v8
	v_fmac_f32_e32 v13, v7, v7
	v_div_scale_f32 v4, s[10:11], v13, v13, 1.0
	v_div_scale_f32 v5, vcc, 1.0, v13, 1.0
	v_rcp_f32_e32 v11, v4
	v_fma_f32 v12, -v4, v11, 1.0
	v_fmac_f32_e32 v11, v12, v11
	v_mul_f32_e32 v12, v5, v11
	v_fma_f32 v14, -v4, v12, v5
	v_fmac_f32_e32 v12, v14, v11
	v_fma_f32 v4, -v4, v12, v5
	v_div_fmas_f32 v14, v4, v11, v12
	ds_read_b64 v[4:5], v0 offset:12296
	ds_read_b64 v[11:12], v6
	s_waitcnt lgkmcnt(1)
	v_mul_f32_e64 v6, v5, -v10
	v_mul_f32_e32 v5, v5, v9
	v_fmac_f32_e32 v6, v9, v4
	v_fmac_f32_e32 v5, v10, v4
	s_waitcnt lgkmcnt(0)
	v_sub_f32_e32 v4, v11, v6
	v_sub_f32_e32 v5, v12, v5
	v_mul_f32_e32 v6, v8, v5
	v_mul_f32_e64 v8, v8, -v4
	v_fmac_f32_e32 v6, v4, v7
	v_fmac_f32_e32 v8, v5, v7
	v_div_fixup_f32 v5, v14, v13, 1.0
	v_mul_f32_e32 v4, v5, v6
	v_mul_f32_e32 v5, v8, v5
.LBB68_53:
	s_or_b64 exec, exec, s[0:1]
	ds_write_b64 v0, v[4:5] offset:12288
.LBB68_54:
	s_or_b64 exec, exec, s[8:9]
	s_load_dword s0, s[4:5], 0x8
	s_waitcnt lgkmcnt(0)
	s_barrier
	v_mov_b32_e32 v9, 0
	s_mul_i32 s0, s0, s7
	v_add_u32_e32 v8, s0, v1
	ds_read2st64_b64 v[4:7], v2 offset1:4
	v_lshlrev_b64 v[0:1], 3, v[8:9]
	v_mov_b32_e32 v8, s3
	v_add_co_u32_e32 v0, vcc, s2, v0
	v_addc_co_u32_e32 v1, vcc, v8, v1, vcc
	v_add_u32_e32 v8, s0, v3
	s_waitcnt lgkmcnt(0)
	global_store_dwordx2 v[0:1], v[4:5], off
	v_lshlrev_b64 v[0:1], 3, v[8:9]
	v_mov_b32_e32 v2, s3
	v_add_co_u32_e32 v0, vcc, s2, v0
	v_addc_co_u32_e32 v1, vcc, v2, v1, vcc
	global_store_dwordx2 v[0:1], v[6:7], off
	s_endpgm
	.section	.rodata,"a",@progbits
	.p2align	6, 0x0
	.amdhsa_kernel _ZN9rocsparseL34gtsv_nopivot_cr_pow2_stage2_kernelILj256E21rocsparse_complex_numIfEEEviiiPKT0_S5_S5_S5_PS3_
		.amdhsa_group_segment_fixed_size 20480
		.amdhsa_private_segment_fixed_size 0
		.amdhsa_kernarg_size 312
		.amdhsa_user_sgpr_count 6
		.amdhsa_user_sgpr_private_segment_buffer 1
		.amdhsa_user_sgpr_dispatch_ptr 0
		.amdhsa_user_sgpr_queue_ptr 0
		.amdhsa_user_sgpr_kernarg_segment_ptr 1
		.amdhsa_user_sgpr_dispatch_id 0
		.amdhsa_user_sgpr_flat_scratch_init 0
		.amdhsa_user_sgpr_private_segment_size 0
		.amdhsa_uses_dynamic_stack 0
		.amdhsa_system_sgpr_private_segment_wavefront_offset 0
		.amdhsa_system_sgpr_workgroup_id_x 1
		.amdhsa_system_sgpr_workgroup_id_y 1
		.amdhsa_system_sgpr_workgroup_id_z 0
		.amdhsa_system_sgpr_workgroup_info 0
		.amdhsa_system_vgpr_workitem_id 0
		.amdhsa_next_free_vgpr 65
		.amdhsa_next_free_sgpr 98
		.amdhsa_reserve_vcc 1
		.amdhsa_reserve_flat_scratch 0
		.amdhsa_float_round_mode_32 0
		.amdhsa_float_round_mode_16_64 0
		.amdhsa_float_denorm_mode_32 3
		.amdhsa_float_denorm_mode_16_64 3
		.amdhsa_dx10_clamp 1
		.amdhsa_ieee_mode 1
		.amdhsa_fp16_overflow 0
		.amdhsa_exception_fp_ieee_invalid_op 0
		.amdhsa_exception_fp_denorm_src 0
		.amdhsa_exception_fp_ieee_div_zero 0
		.amdhsa_exception_fp_ieee_overflow 0
		.amdhsa_exception_fp_ieee_underflow 0
		.amdhsa_exception_fp_ieee_inexact 0
		.amdhsa_exception_int_div_zero 0
	.end_amdhsa_kernel
	.section	.text._ZN9rocsparseL34gtsv_nopivot_cr_pow2_stage2_kernelILj256E21rocsparse_complex_numIfEEEviiiPKT0_S5_S5_S5_PS3_,"axG",@progbits,_ZN9rocsparseL34gtsv_nopivot_cr_pow2_stage2_kernelILj256E21rocsparse_complex_numIfEEEviiiPKT0_S5_S5_S5_PS3_,comdat
.Lfunc_end68:
	.size	_ZN9rocsparseL34gtsv_nopivot_cr_pow2_stage2_kernelILj256E21rocsparse_complex_numIfEEEviiiPKT0_S5_S5_S5_PS3_, .Lfunc_end68-_ZN9rocsparseL34gtsv_nopivot_cr_pow2_stage2_kernelILj256E21rocsparse_complex_numIfEEEviiiPKT0_S5_S5_S5_PS3_
                                        ; -- End function
	.set _ZN9rocsparseL34gtsv_nopivot_cr_pow2_stage2_kernelILj256E21rocsparse_complex_numIfEEEviiiPKT0_S5_S5_S5_PS3_.num_vgpr, 33
	.set _ZN9rocsparseL34gtsv_nopivot_cr_pow2_stage2_kernelILj256E21rocsparse_complex_numIfEEEviiiPKT0_S5_S5_S5_PS3_.num_agpr, 0
	.set _ZN9rocsparseL34gtsv_nopivot_cr_pow2_stage2_kernelILj256E21rocsparse_complex_numIfEEEviiiPKT0_S5_S5_S5_PS3_.numbered_sgpr, 16
	.set _ZN9rocsparseL34gtsv_nopivot_cr_pow2_stage2_kernelILj256E21rocsparse_complex_numIfEEEviiiPKT0_S5_S5_S5_PS3_.num_named_barrier, 0
	.set _ZN9rocsparseL34gtsv_nopivot_cr_pow2_stage2_kernelILj256E21rocsparse_complex_numIfEEEviiiPKT0_S5_S5_S5_PS3_.private_seg_size, 0
	.set _ZN9rocsparseL34gtsv_nopivot_cr_pow2_stage2_kernelILj256E21rocsparse_complex_numIfEEEviiiPKT0_S5_S5_S5_PS3_.uses_vcc, 1
	.set _ZN9rocsparseL34gtsv_nopivot_cr_pow2_stage2_kernelILj256E21rocsparse_complex_numIfEEEviiiPKT0_S5_S5_S5_PS3_.uses_flat_scratch, 0
	.set _ZN9rocsparseL34gtsv_nopivot_cr_pow2_stage2_kernelILj256E21rocsparse_complex_numIfEEEviiiPKT0_S5_S5_S5_PS3_.has_dyn_sized_stack, 0
	.set _ZN9rocsparseL34gtsv_nopivot_cr_pow2_stage2_kernelILj256E21rocsparse_complex_numIfEEEviiiPKT0_S5_S5_S5_PS3_.has_recursion, 0
	.set _ZN9rocsparseL34gtsv_nopivot_cr_pow2_stage2_kernelILj256E21rocsparse_complex_numIfEEEviiiPKT0_S5_S5_S5_PS3_.has_indirect_call, 0
	.section	.AMDGPU.csdata,"",@progbits
; Kernel info:
; codeLenInByte = 5252
; TotalNumSgprs: 20
; NumVgprs: 33
; ScratchSize: 0
; MemoryBound: 0
; FloatMode: 240
; IeeeMode: 1
; LDSByteSize: 20480 bytes/workgroup (compile time only)
; SGPRBlocks: 12
; VGPRBlocks: 16
; NumSGPRsForWavesPerEU: 102
; NumVGPRsForWavesPerEU: 65
; Occupancy: 3
; WaveLimiterHint : 0
; COMPUTE_PGM_RSRC2:SCRATCH_EN: 0
; COMPUTE_PGM_RSRC2:USER_SGPR: 6
; COMPUTE_PGM_RSRC2:TRAP_HANDLER: 0
; COMPUTE_PGM_RSRC2:TGID_X_EN: 1
; COMPUTE_PGM_RSRC2:TGID_Y_EN: 1
; COMPUTE_PGM_RSRC2:TGID_Z_EN: 0
; COMPUTE_PGM_RSRC2:TIDIG_COMP_CNT: 0
	.section	.text._ZN9rocsparseL32gtsv_nopivot_pcr_stage1_n_kernelILj256E21rocsparse_complex_numIfEEEviiiiPKT0_S5_S5_S5_PS3_S6_S6_S6_,"axG",@progbits,_ZN9rocsparseL32gtsv_nopivot_pcr_stage1_n_kernelILj256E21rocsparse_complex_numIfEEEviiiiPKT0_S5_S5_S5_PS3_S6_S6_S6_,comdat
	.globl	_ZN9rocsparseL32gtsv_nopivot_pcr_stage1_n_kernelILj256E21rocsparse_complex_numIfEEEviiiiPKT0_S5_S5_S5_PS3_S6_S6_S6_ ; -- Begin function _ZN9rocsparseL32gtsv_nopivot_pcr_stage1_n_kernelILj256E21rocsparse_complex_numIfEEEviiiiPKT0_S5_S5_S5_PS3_S6_S6_S6_
	.p2align	8
	.type	_ZN9rocsparseL32gtsv_nopivot_pcr_stage1_n_kernelILj256E21rocsparse_complex_numIfEEEviiiiPKT0_S5_S5_S5_PS3_S6_S6_S6_,@function
_ZN9rocsparseL32gtsv_nopivot_pcr_stage1_n_kernelILj256E21rocsparse_complex_numIfEEEviiiiPKT0_S5_S5_S5_PS3_S6_S6_S6_: ; @_ZN9rocsparseL32gtsv_nopivot_pcr_stage1_n_kernelILj256E21rocsparse_complex_numIfEEEviiiiPKT0_S5_S5_S5_PS3_S6_S6_S6_
; %bb.0:
	s_load_dwordx2 s[0:1], s[4:5], 0x0
	v_lshl_or_b32 v0, s6, 8, v0
	s_waitcnt lgkmcnt(0)
	v_cmp_gt_i32_e32 vcc, s1, v0
	s_and_saveexec_b64 s[2:3], vcc
	s_cbranch_execz .LBB69_2
; %bb.1:
	v_add_u32_e32 v1, s0, v0
	s_add_i32 s3, s1, -1
	s_load_dwordx8 s[8:15], s[4:5], 0x10
	s_load_dword s2, s[4:5], 0xc
	v_min_i32_e32 v2, s3, v1
	v_subrev_u32_e32 v1, s0, v0
	v_max_i32_e32 v3, 0, v1
	v_ashrrev_i32_e32 v1, 31, v0
	v_lshlrev_b64 v[0:1], 3, v[0:1]
	s_waitcnt lgkmcnt(0)
	v_mov_b32_e32 v4, s9
	v_add_co_u32_e32 v5, vcc, s8, v0
	v_addc_co_u32_e32 v6, vcc, v4, v1, vcc
	v_mov_b32_e32 v4, 0
	v_lshlrev_b64 v[7:8], 3, v[3:4]
	v_mov_b32_e32 v4, s11
	v_add_co_u32_e32 v3, vcc, s10, v7
	v_addc_co_u32_e32 v4, vcc, v4, v8, vcc
	global_load_dwordx2 v[9:10], v[5:6], off
	global_load_dwordx2 v[11:12], v[3:4], off
	v_ashrrev_i32_e32 v3, 31, v2
	v_lshlrev_b64 v[2:3], 3, v[2:3]
	v_mov_b32_e32 v5, s11
	v_add_co_u32_e32 v4, vcc, s10, v2
	v_addc_co_u32_e32 v5, vcc, v5, v3, vcc
	s_mov_b32 s3, 0
	v_mov_b32_e32 v14, s13
	v_add_co_u32_e32 v13, vcc, s12, v2
	s_mul_i32 s2, s2, s7
	v_addc_co_u32_e32 v14, vcc, v14, v3, vcc
	s_lshl_b64 s[16:17], s[2:3], 3
	v_mov_b32_e32 v16, s9
	v_add_co_u32_e32 v15, vcc, s8, v2
	s_add_u32 s0, s14, s16
	v_addc_co_u32_e32 v16, vcc, v16, v3, vcc
	s_addc_u32 s2, s15, s17
	v_mov_b32_e32 v17, s2
	v_add_co_u32_e32 v2, vcc, s0, v2
	v_addc_co_u32_e32 v3, vcc, v17, v3, vcc
	v_mov_b32_e32 v6, s13
	v_add_co_u32_e32 v17, vcc, s12, v0
	v_addc_co_u32_e32 v18, vcc, v6, v1, vcc
	global_load_dwordx2 v[19:20], v[17:18], off
	global_load_dwordx2 v[21:22], v[4:5], off
	s_waitcnt vmcnt(2)
	v_mul_f32_e32 v6, v12, v10
	v_mul_f32_e64 v17, v12, -v9
	v_fmac_f32_e32 v6, v9, v11
	v_mul_f32_e32 v9, v12, v12
	v_fmac_f32_e32 v9, v11, v11
	v_div_scale_f32 v4, s[14:15], v9, v9, 1.0
	v_div_scale_f32 v5, vcc, 1.0, v9, 1.0
	v_fmac_f32_e32 v17, v10, v11
	v_rcp_f32_e32 v10, v4
	v_fma_f32 v11, -v4, v10, 1.0
	v_fmac_f32_e32 v10, v11, v10
	v_mul_f32_e32 v11, v5, v10
	v_fma_f32 v12, -v4, v11, v5
	v_fmac_f32_e32 v11, v12, v10
	v_fma_f32 v4, -v4, v11, v5
	v_div_fmas_f32 v10, v4, v10, v11
	s_waitcnt vmcnt(0)
	v_mul_f32_e32 v18, v22, v20
	v_mul_f32_e64 v23, v22, -v19
	v_fmac_f32_e32 v18, v19, v21
	v_mul_f32_e32 v19, v22, v22
	v_fmac_f32_e32 v19, v21, v21
	v_div_scale_f32 v5, s[14:15], v19, v19, 1.0
	v_fmac_f32_e32 v23, v20, v21
	v_div_fixup_f32 v9, v10, v9, 1.0
	v_mul_f32_e32 v22, v17, v9
	v_mul_f32_e32 v21, v9, v6
	v_rcp_f32_e32 v4, v5
	v_fma_f32 v11, -v5, v4, 1.0
	v_fmac_f32_e32 v4, v11, v4
	v_div_scale_f32 v11, vcc, 1.0, v19, 1.0
	v_mul_f32_e32 v12, v11, v4
	v_fma_f32 v20, -v5, v12, v11
	v_fmac_f32_e32 v12, v20, v4
	v_fma_f32 v5, -v5, v12, v11
	v_div_fmas_f32 v20, v5, v4, v12
	v_mov_b32_e32 v5, s13
	v_add_co_u32_e32 v4, vcc, s12, v7
	v_addc_co_u32_e32 v5, vcc, v5, v8, vcc
	global_load_dwordx2 v[4:5], v[4:5], off
	s_load_dwordx8 s[12:19], s[4:5], 0x30
	s_waitcnt vmcnt(0)
	v_mul_f32_e64 v6, v22, -v5
	v_mul_f32_e32 v17, v22, v4
	v_fmac_f32_e32 v6, v4, v21
	v_fmac_f32_e32 v17, v5, v21
	v_mov_b32_e32 v5, s11
	v_add_co_u32_e32 v4, vcc, s10, v0
	v_addc_co_u32_e32 v5, vcc, v5, v1, vcc
	global_load_dwordx2 v[9:10], v[4:5], off
	global_load_dwordx2 v[11:12], v[15:16], off
	v_div_fixup_f32 v4, v20, v19, 1.0
	v_mul_f32_e32 v23, v23, v4
	v_mov_b32_e32 v5, s9
	v_mul_f32_e32 v24, v4, v18
	v_add_co_u32_e32 v4, vcc, s8, v7
	v_addc_co_u32_e32 v5, vcc, v5, v8, vcc
	s_waitcnt lgkmcnt(0)
	v_mov_b32_e32 v15, s15
	s_waitcnt vmcnt(1)
	v_sub_f32_e32 v6, v9, v6
	s_waitcnt vmcnt(0)
	v_mul_f32_e64 v9, v23, -v12
	v_fmac_f32_e32 v9, v11, v24
	v_mul_f32_e32 v16, v23, v11
	v_mov_b32_e32 v11, s2
	v_sub_f32_e32 v9, v6, v9
	v_add_co_u32_e32 v6, vcc, s0, v7
	v_addc_co_u32_e32 v7, vcc, v11, v8, vcc
	v_add_co_u32_e32 v11, vcc, s14, v0
	v_fmac_f32_e32 v16, v12, v24
	v_addc_co_u32_e32 v12, vcc, v15, v1, vcc
	v_sub_f32_e32 v10, v10, v17
	v_mov_b32_e32 v8, s2
	v_add_co_u32_e32 v15, vcc, s0, v0
	v_sub_f32_e32 v10, v10, v16
	v_addc_co_u32_e32 v16, vcc, v8, v1, vcc
	global_load_dwordx2 v[17:18], v[4:5], off
	global_load_dwordx2 v[19:20], v[13:14], off
                                        ; kill: killed $vgpr4 killed $vgpr5
                                        ; kill: killed $vgpr13 killed $vgpr14
	s_nop 0
	global_load_dwordx2 v[4:5], v[6:7], off
	global_load_dwordx2 v[13:14], v[15:16], off
                                        ; kill: killed $vgpr6 killed $vgpr7
                                        ; kill: killed $vgpr15 killed $vgpr16
	s_nop 0
	global_load_dwordx2 v[2:3], v[2:3], off
	v_add_co_u32_e32 v8, vcc, s12, v0
	global_store_dwordx2 v[11:12], v[9:10], off
	v_mov_b32_e32 v9, s13
	v_addc_co_u32_e32 v9, vcc, v9, v1, vcc
	s_mul_i32 s2, s1, s7
	s_lshl_b64 s[0:1], s[2:3], 3
	s_add_u32 s0, s18, s0
	s_addc_u32 s1, s19, s1
	s_waitcnt vmcnt(5)
	v_mul_f32_e32 v6, v22, v18
	v_mul_f32_e64 v7, v22, -v17
	v_fma_f32 v6, -v17, v21, v6
	v_fma_f32 v7, -v18, v21, v7
	global_store_dwordx2 v[8:9], v[6:7], off
	s_waitcnt vmcnt(5)
	v_mul_f32_e32 v6, v23, v20
	v_mul_f32_e64 v7, v23, -v19
	v_mov_b32_e32 v9, s17
	v_add_co_u32_e32 v8, vcc, s16, v0
	v_fma_f32 v6, -v19, v24, v6
	v_fma_f32 v7, -v20, v24, v7
	v_addc_co_u32_e32 v9, vcc, v9, v1, vcc
	global_store_dwordx2 v[8:9], v[6:7], off
	s_waitcnt vmcnt(5)
	v_mul_f32_e64 v6, v22, -v5
	v_fmac_f32_e32 v6, v4, v21
	v_mul_f32_e32 v4, v22, v4
	v_fmac_f32_e32 v4, v5, v21
	s_waitcnt vmcnt(3)
	v_mul_f32_e32 v7, v23, v2
	v_sub_f32_e32 v5, v13, v6
	v_sub_f32_e32 v4, v14, v4
	v_mul_f32_e64 v6, v23, -v3
	v_fmac_f32_e32 v7, v3, v24
	v_fmac_f32_e32 v6, v2, v24
	v_sub_f32_e32 v3, v4, v7
	v_mov_b32_e32 v4, s1
	v_add_co_u32_e32 v0, vcc, s0, v0
	v_sub_f32_e32 v2, v5, v6
	v_addc_co_u32_e32 v1, vcc, v4, v1, vcc
	global_store_dwordx2 v[0:1], v[2:3], off
.LBB69_2:
	s_endpgm
	.section	.rodata,"a",@progbits
	.p2align	6, 0x0
	.amdhsa_kernel _ZN9rocsparseL32gtsv_nopivot_pcr_stage1_n_kernelILj256E21rocsparse_complex_numIfEEEviiiiPKT0_S5_S5_S5_PS3_S6_S6_S6_
		.amdhsa_group_segment_fixed_size 0
		.amdhsa_private_segment_fixed_size 0
		.amdhsa_kernarg_size 80
		.amdhsa_user_sgpr_count 6
		.amdhsa_user_sgpr_private_segment_buffer 1
		.amdhsa_user_sgpr_dispatch_ptr 0
		.amdhsa_user_sgpr_queue_ptr 0
		.amdhsa_user_sgpr_kernarg_segment_ptr 1
		.amdhsa_user_sgpr_dispatch_id 0
		.amdhsa_user_sgpr_flat_scratch_init 0
		.amdhsa_user_sgpr_private_segment_size 0
		.amdhsa_uses_dynamic_stack 0
		.amdhsa_system_sgpr_private_segment_wavefront_offset 0
		.amdhsa_system_sgpr_workgroup_id_x 1
		.amdhsa_system_sgpr_workgroup_id_y 1
		.amdhsa_system_sgpr_workgroup_id_z 0
		.amdhsa_system_sgpr_workgroup_info 0
		.amdhsa_system_vgpr_workitem_id 0
		.amdhsa_next_free_vgpr 25
		.amdhsa_next_free_sgpr 20
		.amdhsa_reserve_vcc 1
		.amdhsa_reserve_flat_scratch 0
		.amdhsa_float_round_mode_32 0
		.amdhsa_float_round_mode_16_64 0
		.amdhsa_float_denorm_mode_32 3
		.amdhsa_float_denorm_mode_16_64 3
		.amdhsa_dx10_clamp 1
		.amdhsa_ieee_mode 1
		.amdhsa_fp16_overflow 0
		.amdhsa_exception_fp_ieee_invalid_op 0
		.amdhsa_exception_fp_denorm_src 0
		.amdhsa_exception_fp_ieee_div_zero 0
		.amdhsa_exception_fp_ieee_overflow 0
		.amdhsa_exception_fp_ieee_underflow 0
		.amdhsa_exception_fp_ieee_inexact 0
		.amdhsa_exception_int_div_zero 0
	.end_amdhsa_kernel
	.section	.text._ZN9rocsparseL32gtsv_nopivot_pcr_stage1_n_kernelILj256E21rocsparse_complex_numIfEEEviiiiPKT0_S5_S5_S5_PS3_S6_S6_S6_,"axG",@progbits,_ZN9rocsparseL32gtsv_nopivot_pcr_stage1_n_kernelILj256E21rocsparse_complex_numIfEEEviiiiPKT0_S5_S5_S5_PS3_S6_S6_S6_,comdat
.Lfunc_end69:
	.size	_ZN9rocsparseL32gtsv_nopivot_pcr_stage1_n_kernelILj256E21rocsparse_complex_numIfEEEviiiiPKT0_S5_S5_S5_PS3_S6_S6_S6_, .Lfunc_end69-_ZN9rocsparseL32gtsv_nopivot_pcr_stage1_n_kernelILj256E21rocsparse_complex_numIfEEEviiiiPKT0_S5_S5_S5_PS3_S6_S6_S6_
                                        ; -- End function
	.set _ZN9rocsparseL32gtsv_nopivot_pcr_stage1_n_kernelILj256E21rocsparse_complex_numIfEEEviiiiPKT0_S5_S5_S5_PS3_S6_S6_S6_.num_vgpr, 25
	.set _ZN9rocsparseL32gtsv_nopivot_pcr_stage1_n_kernelILj256E21rocsparse_complex_numIfEEEviiiiPKT0_S5_S5_S5_PS3_S6_S6_S6_.num_agpr, 0
	.set _ZN9rocsparseL32gtsv_nopivot_pcr_stage1_n_kernelILj256E21rocsparse_complex_numIfEEEviiiiPKT0_S5_S5_S5_PS3_S6_S6_S6_.numbered_sgpr, 20
	.set _ZN9rocsparseL32gtsv_nopivot_pcr_stage1_n_kernelILj256E21rocsparse_complex_numIfEEEviiiiPKT0_S5_S5_S5_PS3_S6_S6_S6_.num_named_barrier, 0
	.set _ZN9rocsparseL32gtsv_nopivot_pcr_stage1_n_kernelILj256E21rocsparse_complex_numIfEEEviiiiPKT0_S5_S5_S5_PS3_S6_S6_S6_.private_seg_size, 0
	.set _ZN9rocsparseL32gtsv_nopivot_pcr_stage1_n_kernelILj256E21rocsparse_complex_numIfEEEviiiiPKT0_S5_S5_S5_PS3_S6_S6_S6_.uses_vcc, 1
	.set _ZN9rocsparseL32gtsv_nopivot_pcr_stage1_n_kernelILj256E21rocsparse_complex_numIfEEEviiiiPKT0_S5_S5_S5_PS3_S6_S6_S6_.uses_flat_scratch, 0
	.set _ZN9rocsparseL32gtsv_nopivot_pcr_stage1_n_kernelILj256E21rocsparse_complex_numIfEEEviiiiPKT0_S5_S5_S5_PS3_S6_S6_S6_.has_dyn_sized_stack, 0
	.set _ZN9rocsparseL32gtsv_nopivot_pcr_stage1_n_kernelILj256E21rocsparse_complex_numIfEEEviiiiPKT0_S5_S5_S5_PS3_S6_S6_S6_.has_recursion, 0
	.set _ZN9rocsparseL32gtsv_nopivot_pcr_stage1_n_kernelILj256E21rocsparse_complex_numIfEEEviiiiPKT0_S5_S5_S5_PS3_S6_S6_S6_.has_indirect_call, 0
	.section	.AMDGPU.csdata,"",@progbits
; Kernel info:
; codeLenInByte = 908
; TotalNumSgprs: 24
; NumVgprs: 25
; ScratchSize: 0
; MemoryBound: 0
; FloatMode: 240
; IeeeMode: 1
; LDSByteSize: 0 bytes/workgroup (compile time only)
; SGPRBlocks: 2
; VGPRBlocks: 6
; NumSGPRsForWavesPerEU: 24
; NumVGPRsForWavesPerEU: 25
; Occupancy: 9
; WaveLimiterHint : 0
; COMPUTE_PGM_RSRC2:SCRATCH_EN: 0
; COMPUTE_PGM_RSRC2:USER_SGPR: 6
; COMPUTE_PGM_RSRC2:TRAP_HANDLER: 0
; COMPUTE_PGM_RSRC2:TGID_X_EN: 1
; COMPUTE_PGM_RSRC2:TGID_Y_EN: 1
; COMPUTE_PGM_RSRC2:TGID_Z_EN: 0
; COMPUTE_PGM_RSRC2:TIDIG_COMP_CNT: 0
	.section	.text._ZN9rocsparseL30gtsv_nopivot_pcr_stage2_kernelILj512E21rocsparse_complex_numIfEEEviiiPKT0_S5_S5_S5_PS3_,"axG",@progbits,_ZN9rocsparseL30gtsv_nopivot_pcr_stage2_kernelILj512E21rocsparse_complex_numIfEEEviiiPKT0_S5_S5_S5_PS3_,comdat
	.globl	_ZN9rocsparseL30gtsv_nopivot_pcr_stage2_kernelILj512E21rocsparse_complex_numIfEEEviiiPKT0_S5_S5_S5_PS3_ ; -- Begin function _ZN9rocsparseL30gtsv_nopivot_pcr_stage2_kernelILj512E21rocsparse_complex_numIfEEEviiiPKT0_S5_S5_S5_PS3_
	.p2align	8
	.type	_ZN9rocsparseL30gtsv_nopivot_pcr_stage2_kernelILj512E21rocsparse_complex_numIfEEEviiiPKT0_S5_S5_S5_PS3_,@function
_ZN9rocsparseL30gtsv_nopivot_pcr_stage2_kernelILj512E21rocsparse_complex_numIfEEEviiiPKT0_S5_S5_S5_PS3_: ; @_ZN9rocsparseL30gtsv_nopivot_pcr_stage2_kernelILj512E21rocsparse_complex_numIfEEEviiiPKT0_S5_S5_S5_PS3_
; %bb.0:
	s_load_dword s2, s[4:5], 0x38
	s_load_dword s3, s[4:5], 0x0
	s_load_dwordx8 s[8:15], s[4:5], 0x10
	s_waitcnt lgkmcnt(0)
	v_mul_lo_u32 v1, s2, v0
	s_add_i32 s16, s3, s6
	s_sub_i32 s17, s16, s2
	v_mov_b32_e32 v5, s9
	v_add_u32_e32 v1, s6, v1
	v_ashrrev_i32_e32 v2, 31, v1
	v_cmp_gt_i32_e64 s[0:1], s3, v1
	v_cndmask_b32_e64 v3, 0, v2, s[0:1]
	v_mov_b32_e32 v2, s17
	v_cndmask_b32_e64 v2, v2, v1, s[0:1]
	v_lshlrev_b64 v[2:3], 3, v[2:3]
	s_mul_i32 s3, s3, s7
	v_add_co_u32_e32 v4, vcc, s8, v2
	v_addc_co_u32_e32 v5, vcc, v5, v3, vcc
	global_load_dwordx2 v[6:7], v[4:5], off
	v_mov_b32_e32 v5, s11
	v_add_co_u32_e32 v4, vcc, s10, v2
	v_addc_co_u32_e32 v5, vcc, v5, v3, vcc
	global_load_dwordx2 v[8:9], v[4:5], off
	v_mov_b32_e32 v4, s13
	v_add_co_u32_e32 v2, vcc, s12, v2
	s_add_i32 s16, s16, s3
	v_addc_co_u32_e32 v3, vcc, v4, v3, vcc
	s_sub_i32 s2, s16, s2
	global_load_dwordx2 v[10:11], v[2:3], off
	v_add_u32_e32 v2, s3, v1
	v_mov_b32_e32 v3, s2
	v_cndmask_b32_e64 v2, v3, v2, s[0:1]
	v_mov_b32_e32 v3, 0
	v_lshlrev_b64 v[2:3], 3, v[2:3]
	v_mov_b32_e32 v4, s15
	v_add_co_u32_e32 v2, vcc, s14, v2
	v_addc_co_u32_e32 v3, vcc, v4, v3, vcc
	global_load_dwordx2 v[12:13], v[2:3], off
	s_load_dwordx2 s[8:9], s[4:5], 0x30
	v_lshlrev_b32_e32 v2, 3, v0
	s_mov_b32 s6, 1
	v_or_b32_e32 v5, 0x1000, v2
	v_or_b32_e32 v4, 0x2000, v2
	;; [unrolled: 1-line block ×3, first 2 shown]
	s_mov_b32 s10, 8
	s_waitcnt vmcnt(2)
	ds_write2st64_b64 v2, v[6:7], v[8:9] offset1:8
	s_waitcnt vmcnt(0)
	ds_write2st64_b64 v2, v[10:11], v[12:13] offset0:16 offset1:32
	s_waitcnt lgkmcnt(0)
	s_barrier
.LBB70_1:                               ; =>This Inner Loop Header: Depth=1
	v_subrev_u32_e32 v7, s6, v0
	v_add_u32_e32 v6, s6, v0
	v_max_i32_e32 v7, 0, v7
	v_min_u32_e32 v6, 0x1ff, v6
	v_lshlrev_b32_e32 v18, 3, v7
	ds_read_b64 v[14:15], v2
	ds_read_b64 v[16:17], v4
	;; [unrolled: 1-line block ×4, first 2 shown]
	v_lshlrev_b32_e32 v19, 3, v6
	ds_read2st64_b64 v[6:9], v18 offset1:8
	ds_read2st64_b64 v[10:13], v19 offset1:8
	s_lshl_b32 s6, s6, 1
	s_add_i32 s10, s10, -1
	s_cmp_eq_u32 s10, 0
	s_waitcnt lgkmcnt(1)
	v_mul_f32_e32 v24, v9, v9
	v_mul_f32_e32 v25, v9, v15
	v_mul_f32_e64 v9, v9, -v14
	s_waitcnt lgkmcnt(0)
	v_mul_f32_e32 v26, v13, v13
	v_fmac_f32_e32 v24, v8, v8
	v_fmac_f32_e32 v25, v14, v8
	;; [unrolled: 1-line block ×4, first 2 shown]
	v_div_scale_f32 v8, s[2:3], v24, v24, 1.0
	v_div_scale_f32 v29, s[2:3], v26, v26, 1.0
	v_mul_f32_e32 v27, v13, v17
	v_mul_f32_e64 v28, v13, -v16
	v_fmac_f32_e32 v27, v16, v12
	v_div_scale_f32 v16, vcc, 1.0, v24, 1.0
	v_div_scale_f32 v30, s[2:3], 1.0, v26, 1.0
	v_fmac_f32_e32 v28, v17, v12
	v_rcp_f32_e32 v17, v8
	v_rcp_f32_e32 v31, v29
	v_fma_f32 v12, -v8, v17, 1.0
	v_fmac_f32_e32 v17, v12, v17
	v_fma_f32 v13, -v29, v31, 1.0
	v_fmac_f32_e32 v31, v13, v31
	v_mul_f32_e32 v32, v16, v17
	v_mul_f32_e32 v33, v30, v31
	v_fma_f32 v12, -v8, v32, v16
	v_fma_f32 v13, -v29, v33, v30
	v_fmac_f32_e32 v32, v12, v17
	v_fmac_f32_e32 v33, v13, v31
	v_fma_f32 v8, -v8, v32, v16
	v_div_fmas_f32 v8, v8, v17, v32
	v_fma_f32 v29, -v29, v33, v30
	s_mov_b64 vcc, s[2:3]
	v_div_fmas_f32 v29, v29, v31, v33
	ds_read2st64_b64 v[12:15], v18 offset0:16 offset1:32
	ds_read2st64_b64 v[16:19], v19 offset0:16 offset1:32
	s_waitcnt lgkmcnt(0)
	s_barrier
	v_div_fixup_f32 v8, v8, v24, 1.0
	v_mul_f32_e32 v24, v8, v25
	v_mul_f32_e32 v8, v9, v8
	v_div_fixup_f32 v9, v29, v26, 1.0
	v_mul_f32_e32 v25, v9, v27
	v_mul_f32_e32 v9, v28, v9
	v_mul_f32_e64 v26, v8, -v13
	v_mul_f32_e32 v27, v8, v12
	v_mul_f32_e64 v28, v8, -v15
	v_mul_f32_e32 v29, v8, v14
	v_mul_f32_e32 v30, v8, v7
	v_mul_f32_e64 v8, v8, -v6
	v_fmac_f32_e32 v26, v12, v24
	v_fmac_f32_e32 v27, v13, v24
	v_mul_f32_e64 v12, v9, -v11
	v_mul_f32_e32 v13, v9, v10
	v_fmac_f32_e32 v28, v14, v24
	v_fmac_f32_e32 v29, v15, v24
	v_mul_f32_e64 v14, v9, -v19
	v_mul_f32_e32 v15, v9, v18
	v_fma_f32 v7, -v7, v24, v8
	v_mul_f32_e32 v8, v9, v17
	v_mul_f32_e64 v9, v9, -v16
	v_fma_f32 v6, -v6, v24, v30
	v_sub_f32_e32 v22, v22, v26
	v_sub_f32_e32 v23, v23, v27
	v_fmac_f32_e32 v12, v10, v25
	v_fmac_f32_e32 v13, v11, v25
	v_sub_f32_e32 v10, v20, v28
	v_sub_f32_e32 v11, v21, v29
	v_fmac_f32_e32 v14, v18, v25
	v_fmac_f32_e32 v15, v19, v25
	v_fma_f32 v8, -v16, v25, v8
	v_fma_f32 v9, -v17, v25, v9
	ds_write_b64 v2, v[6:7]
	v_sub_f32_e32 v6, v22, v12
	v_sub_f32_e32 v7, v23, v13
	;; [unrolled: 1-line block ×4, first 2 shown]
	ds_write_b64 v4, v[8:9]
	ds_write_b64 v5, v[6:7]
	;; [unrolled: 1-line block ×3, first 2 shown]
	s_waitcnt lgkmcnt(0)
	s_barrier
	s_cbranch_scc0 .LBB70_1
; %bb.2:
	s_movk_i32 s2, 0x100
	v_cmp_gt_u32_e32 vcc, s2, v0
	s_and_saveexec_b64 s[2:3], vcc
	s_cbranch_execz .LBB70_4
; %bb.3:
	ds_read2st64_b64 v[5:8], v5 offset1:4
	ds_read_b64 v[13:14], v4
	ds_read_b64 v[15:16], v2 offset:2048
	s_waitcnt lgkmcnt(2)
	v_mul_f32_e32 v4, v6, v7
	v_mul_f32_e64 v0, v6, -v8
	s_waitcnt lgkmcnt(0)
	v_mul_f32_e32 v10, v16, v13
	v_fmac_f32_e32 v4, v8, v5
	v_mul_f32_e64 v9, v16, -v14
	v_fmac_f32_e32 v10, v14, v15
	v_fmac_f32_e32 v0, v7, v5
	v_fmac_f32_e32 v9, v13, v15
	v_sub_f32_e32 v4, v4, v10
	v_sub_f32_e32 v0, v0, v9
	v_mul_f32_e32 v17, v4, v4
	v_fmac_f32_e32 v17, v0, v0
	v_div_scale_f32 v18, s[10:11], v17, v17, 1.0
	v_div_scale_f32 v19, vcc, 1.0, v17, 1.0
	ds_read2st64_b64 v[9:12], v3 offset1:4
	s_waitcnt lgkmcnt(0)
	v_mul_f32_e64 v3, v10, -v8
	v_mul_f32_e64 v22, v12, -v14
	;; [unrolled: 1-line block ×3, first 2 shown]
	v_mul_f32_e32 v6, v6, v11
	v_fmac_f32_e32 v3, v7, v9
	v_fmac_f32_e32 v22, v13, v11
	v_mul_f32_e32 v20, v10, v7
	v_rcp_f32_e32 v21, v18
	v_mul_f32_e32 v23, v12, v13
	v_fmac_f32_e32 v24, v11, v5
	v_fmac_f32_e32 v6, v12, v5
	v_fma_f32 v25, -v18, v21, 1.0
	v_fmac_f32_e32 v21, v25, v21
	v_mul_f32_e32 v25, v19, v21
	v_fma_f32 v26, -v18, v25, v19
	v_fmac_f32_e32 v25, v26, v21
	v_fma_f32 v18, -v18, v25, v19
	v_div_fmas_f32 v18, v18, v21, v25
	v_sub_f32_e32 v5, v3, v22
	v_fma_f32 v3, 0, v4, v0
	v_fma_f32 v0, v0, 0, -v4
	v_mul_f32_e64 v19, v16, -v10
	v_mul_f32_e32 v16, v16, v9
	v_fmac_f32_e32 v20, v8, v9
	v_fmac_f32_e32 v23, v14, v11
	;; [unrolled: 1-line block ×4, first 2 shown]
	v_sub_f32_e32 v7, v20, v23
	v_sub_f32_e32 v9, v6, v16
	v_div_fixup_f32 v4, v18, v17, 1.0
	v_mul_f32_e32 v0, v0, v4
	v_mul_f32_e32 v8, v3, v4
	;; [unrolled: 1-line block ×3, first 2 shown]
	v_mul_f32_e64 v3, v0, -v7
	v_fmac_f32_e32 v4, v7, v8
	v_sub_f32_e32 v7, v24, v19
	v_fmac_f32_e32 v3, v5, v8
	v_mul_f32_e64 v5, v0, -v9
	v_mul_f32_e32 v6, v0, v7
	v_fmac_f32_e32 v5, v7, v8
	v_fmac_f32_e32 v6, v9, v8
	ds_write2st64_b64 v2, v[3:4], v[5:6] offset0:24 offset1:28
.LBB70_4:
	s_or_b64 exec, exec, s[2:3]
	s_waitcnt lgkmcnt(0)
	s_barrier
	s_and_saveexec_b64 s[2:3], s[0:1]
	s_cbranch_execz .LBB70_6
; %bb.5:
	s_load_dword s0, s[4:5], 0x8
	v_mov_b32_e32 v3, 0
	ds_read_b64 v[4:5], v2 offset:12288
	v_mov_b32_e32 v6, s9
	s_waitcnt lgkmcnt(0)
	s_mul_i32 s0, s0, s7
	v_add_u32_e32 v2, s0, v1
	v_lshlrev_b64 v[0:1], 3, v[2:3]
	v_add_co_u32_e32 v0, vcc, s8, v0
	v_addc_co_u32_e32 v1, vcc, v6, v1, vcc
	global_store_dwordx2 v[0:1], v[4:5], off
.LBB70_6:
	s_endpgm
	.section	.rodata,"a",@progbits
	.p2align	6, 0x0
	.amdhsa_kernel _ZN9rocsparseL30gtsv_nopivot_pcr_stage2_kernelILj512E21rocsparse_complex_numIfEEEviiiPKT0_S5_S5_S5_PS3_
		.amdhsa_group_segment_fixed_size 20480
		.amdhsa_private_segment_fixed_size 0
		.amdhsa_kernarg_size 312
		.amdhsa_user_sgpr_count 6
		.amdhsa_user_sgpr_private_segment_buffer 1
		.amdhsa_user_sgpr_dispatch_ptr 0
		.amdhsa_user_sgpr_queue_ptr 0
		.amdhsa_user_sgpr_kernarg_segment_ptr 1
		.amdhsa_user_sgpr_dispatch_id 0
		.amdhsa_user_sgpr_flat_scratch_init 0
		.amdhsa_user_sgpr_private_segment_size 0
		.amdhsa_uses_dynamic_stack 0
		.amdhsa_system_sgpr_private_segment_wavefront_offset 0
		.amdhsa_system_sgpr_workgroup_id_x 1
		.amdhsa_system_sgpr_workgroup_id_y 1
		.amdhsa_system_sgpr_workgroup_id_z 0
		.amdhsa_system_sgpr_workgroup_info 0
		.amdhsa_system_vgpr_workitem_id 0
		.amdhsa_next_free_vgpr 37
		.amdhsa_next_free_sgpr 93
		.amdhsa_reserve_vcc 1
		.amdhsa_reserve_flat_scratch 0
		.amdhsa_float_round_mode_32 0
		.amdhsa_float_round_mode_16_64 0
		.amdhsa_float_denorm_mode_32 3
		.amdhsa_float_denorm_mode_16_64 3
		.amdhsa_dx10_clamp 1
		.amdhsa_ieee_mode 1
		.amdhsa_fp16_overflow 0
		.amdhsa_exception_fp_ieee_invalid_op 0
		.amdhsa_exception_fp_denorm_src 0
		.amdhsa_exception_fp_ieee_div_zero 0
		.amdhsa_exception_fp_ieee_overflow 0
		.amdhsa_exception_fp_ieee_underflow 0
		.amdhsa_exception_fp_ieee_inexact 0
		.amdhsa_exception_int_div_zero 0
	.end_amdhsa_kernel
	.section	.text._ZN9rocsparseL30gtsv_nopivot_pcr_stage2_kernelILj512E21rocsparse_complex_numIfEEEviiiPKT0_S5_S5_S5_PS3_,"axG",@progbits,_ZN9rocsparseL30gtsv_nopivot_pcr_stage2_kernelILj512E21rocsparse_complex_numIfEEEviiiPKT0_S5_S5_S5_PS3_,comdat
.Lfunc_end70:
	.size	_ZN9rocsparseL30gtsv_nopivot_pcr_stage2_kernelILj512E21rocsparse_complex_numIfEEEviiiPKT0_S5_S5_S5_PS3_, .Lfunc_end70-_ZN9rocsparseL30gtsv_nopivot_pcr_stage2_kernelILj512E21rocsparse_complex_numIfEEEviiiPKT0_S5_S5_S5_PS3_
                                        ; -- End function
	.set _ZN9rocsparseL30gtsv_nopivot_pcr_stage2_kernelILj512E21rocsparse_complex_numIfEEEviiiPKT0_S5_S5_S5_PS3_.num_vgpr, 34
	.set _ZN9rocsparseL30gtsv_nopivot_pcr_stage2_kernelILj512E21rocsparse_complex_numIfEEEviiiPKT0_S5_S5_S5_PS3_.num_agpr, 0
	.set _ZN9rocsparseL30gtsv_nopivot_pcr_stage2_kernelILj512E21rocsparse_complex_numIfEEEviiiPKT0_S5_S5_S5_PS3_.numbered_sgpr, 18
	.set _ZN9rocsparseL30gtsv_nopivot_pcr_stage2_kernelILj512E21rocsparse_complex_numIfEEEviiiPKT0_S5_S5_S5_PS3_.num_named_barrier, 0
	.set _ZN9rocsparseL30gtsv_nopivot_pcr_stage2_kernelILj512E21rocsparse_complex_numIfEEEviiiPKT0_S5_S5_S5_PS3_.private_seg_size, 0
	.set _ZN9rocsparseL30gtsv_nopivot_pcr_stage2_kernelILj512E21rocsparse_complex_numIfEEEviiiPKT0_S5_S5_S5_PS3_.uses_vcc, 1
	.set _ZN9rocsparseL30gtsv_nopivot_pcr_stage2_kernelILj512E21rocsparse_complex_numIfEEEviiiPKT0_S5_S5_S5_PS3_.uses_flat_scratch, 0
	.set _ZN9rocsparseL30gtsv_nopivot_pcr_stage2_kernelILj512E21rocsparse_complex_numIfEEEviiiPKT0_S5_S5_S5_PS3_.has_dyn_sized_stack, 0
	.set _ZN9rocsparseL30gtsv_nopivot_pcr_stage2_kernelILj512E21rocsparse_complex_numIfEEEviiiPKT0_S5_S5_S5_PS3_.has_recursion, 0
	.set _ZN9rocsparseL30gtsv_nopivot_pcr_stage2_kernelILj512E21rocsparse_complex_numIfEEEviiiPKT0_S5_S5_S5_PS3_.has_indirect_call, 0
	.section	.AMDGPU.csdata,"",@progbits
; Kernel info:
; codeLenInByte = 1276
; TotalNumSgprs: 22
; NumVgprs: 34
; ScratchSize: 0
; MemoryBound: 0
; FloatMode: 240
; IeeeMode: 1
; LDSByteSize: 20480 bytes/workgroup (compile time only)
; SGPRBlocks: 12
; VGPRBlocks: 9
; NumSGPRsForWavesPerEU: 97
; NumVGPRsForWavesPerEU: 37
; Occupancy: 6
; WaveLimiterHint : 0
; COMPUTE_PGM_RSRC2:SCRATCH_EN: 0
; COMPUTE_PGM_RSRC2:USER_SGPR: 6
; COMPUTE_PGM_RSRC2:TRAP_HANDLER: 0
; COMPUTE_PGM_RSRC2:TGID_X_EN: 1
; COMPUTE_PGM_RSRC2:TGID_Y_EN: 1
; COMPUTE_PGM_RSRC2:TGID_Z_EN: 0
; COMPUTE_PGM_RSRC2:TIDIG_COMP_CNT: 0
	.section	.text._ZN9rocsparseL35gtsv_nopivot_pcr_pow2_stage1_kernelILj256E21rocsparse_complex_numIfEEEviiiiPKT0_S5_S5_S5_PS3_S6_S6_S6_,"axG",@progbits,_ZN9rocsparseL35gtsv_nopivot_pcr_pow2_stage1_kernelILj256E21rocsparse_complex_numIfEEEviiiiPKT0_S5_S5_S5_PS3_S6_S6_S6_,comdat
	.globl	_ZN9rocsparseL35gtsv_nopivot_pcr_pow2_stage1_kernelILj256E21rocsparse_complex_numIfEEEviiiiPKT0_S5_S5_S5_PS3_S6_S6_S6_ ; -- Begin function _ZN9rocsparseL35gtsv_nopivot_pcr_pow2_stage1_kernelILj256E21rocsparse_complex_numIfEEEviiiiPKT0_S5_S5_S5_PS3_S6_S6_S6_
	.p2align	8
	.type	_ZN9rocsparseL35gtsv_nopivot_pcr_pow2_stage1_kernelILj256E21rocsparse_complex_numIfEEEviiiiPKT0_S5_S5_S5_PS3_S6_S6_S6_,@function
_ZN9rocsparseL35gtsv_nopivot_pcr_pow2_stage1_kernelILj256E21rocsparse_complex_numIfEEEviiiiPKT0_S5_S5_S5_PS3_S6_S6_S6_: ; @_ZN9rocsparseL35gtsv_nopivot_pcr_pow2_stage1_kernelILj256E21rocsparse_complex_numIfEEEviiiiPKT0_S5_S5_S5_PS3_S6_S6_S6_
; %bb.0:
	s_load_dwordx8 s[8:15], s[4:5], 0x0
	v_lshl_or_b32 v4, s6, 8, v0
	v_ashrrev_i32_e32 v5, 31, v4
	v_mov_b32_e32 v3, 0
	s_waitcnt lgkmcnt(0)
	v_subrev_u32_e32 v0, s8, v4
	v_max_i32_e32 v2, 0, v0
	v_lshlrev_b64 v[0:1], 3, v[4:5]
	v_mov_b32_e32 v19, s13
	v_add_co_u32_e32 v5, vcc, s12, v0
	v_lshlrev_b64 v[2:3], 3, v[2:3]
	v_addc_co_u32_e32 v6, vcc, v19, v1, vcc
	v_mov_b32_e32 v20, s15
	v_add_co_u32_e32 v7, vcc, s14, v2
	v_addc_co_u32_e32 v8, vcc, v20, v3, vcc
	global_load_dwordx2 v[9:10], v[7:8], off
	global_load_dwordx2 v[11:12], v[5:6], off
	s_load_dwordx2 s[6:7], s[4:5], 0x20
	s_load_dwordx4 s[0:3], s[4:5], 0x30
	v_add_u32_e32 v4, s8, v4
	s_add_i32 s8, s9, -1
	v_min_i32_e32 v4, s8, v4
	v_ashrrev_i32_e32 v5, 31, v4
	s_waitcnt lgkmcnt(0)
	v_mov_b32_e32 v21, s7
	v_add_co_u32_e32 v6, vcc, s6, v0
	v_lshlrev_b64 v[4:5], 3, v[4:5]
	v_addc_co_u32_e32 v7, vcc, v21, v1, vcc
	v_add_co_u32_e32 v13, vcc, s14, v4
	v_addc_co_u32_e32 v14, vcc, v20, v5, vcc
	global_load_dwordx2 v[15:16], v[6:7], off
	global_load_dwordx2 v[17:18], v[13:14], off
	s_cmp_lt_i32 s10, 1
	s_waitcnt vmcnt(3)
	v_mul_f32_e32 v13, v10, v10
	v_fmac_f32_e32 v13, v9, v9
	v_div_scale_f32 v6, s[16:17], v13, v13, 1.0
	v_div_scale_f32 v7, vcc, 1.0, v13, 1.0
	s_waitcnt vmcnt(2)
	v_mul_f32_e32 v14, v10, v12
	v_mul_f32_e64 v10, v10, -v11
	v_fmac_f32_e32 v14, v11, v9
	v_fmac_f32_e32 v10, v12, v9
	v_mov_b32_e32 v12, s1
	s_waitcnt vmcnt(0)
	v_mul_f32_e32 v22, v18, v16
	v_rcp_f32_e32 v8, v6
	v_mul_f32_e64 v23, v18, -v15
	v_mul_f32_e32 v18, v18, v18
	v_fmac_f32_e32 v18, v17, v17
	v_fma_f32 v9, -v6, v8, 1.0
	v_fmac_f32_e32 v8, v9, v8
	v_mul_f32_e32 v9, v7, v8
	v_fma_f32 v11, -v6, v9, v7
	v_fmac_f32_e32 v9, v11, v8
	v_fma_f32 v6, -v6, v9, v7
	v_div_fmas_f32 v11, v6, v8, v9
	v_add_co_u32_e32 v6, vcc, s12, v2
	v_addc_co_u32_e32 v7, vcc, v19, v3, vcc
	global_load_dwordx2 v[8:9], v[6:7], off
	v_fmac_f32_e32 v22, v15, v17
	v_fmac_f32_e32 v23, v16, v17
	v_div_fixup_f32 v7, v11, v13, 1.0
	v_div_scale_f32 v13, s[16:17], v18, v18, 1.0
	v_mul_f32_e32 v6, v7, v14
	v_mul_f32_e32 v7, v10, v7
	s_waitcnt vmcnt(0)
	v_mul_f32_e32 v10, v7, v9
	v_mul_f32_e64 v11, v7, -v8
	v_fma_f32 v8, -v8, v6, v10
	v_add_co_u32_e32 v10, vcc, s0, v0
	v_fma_f32 v9, -v9, v6, v11
	v_addc_co_u32_e32 v11, vcc, v12, v1, vcc
	v_div_scale_f32 v12, vcc, 1.0, v18, 1.0
	global_store_dwordx2 v[10:11], v[8:9], off
	v_rcp_f32_e32 v10, v13
	v_fma_f32 v8, -v13, v10, 1.0
	v_fmac_f32_e32 v10, v8, v10
	v_mul_f32_e32 v11, v12, v10
	v_fma_f32 v8, -v13, v11, v12
	v_fmac_f32_e32 v11, v8, v10
	v_add_co_u32_e64 v8, s[0:1], s6, v2
	v_addc_co_u32_e64 v9, s[0:1], v21, v3, s[0:1]
	global_load_dwordx2 v[8:9], v[8:9], off
	v_fma_f32 v12, -v13, v11, v12
	v_div_fmas_f32 v24, v12, v10, v11
	v_add_co_u32_e32 v10, vcc, s14, v0
	v_addc_co_u32_e32 v11, vcc, v20, v1, vcc
	v_mov_b32_e32 v13, s3
	v_add_co_u32_e32 v12, vcc, s2, v0
	v_addc_co_u32_e32 v13, vcc, v13, v1, vcc
	v_add_co_u32_e32 v14, vcc, s6, v4
	v_addc_co_u32_e32 v15, vcc, v21, v5, vcc
	;; [unrolled: 2-line block ×3, first 2 shown]
	s_load_dwordx2 s[0:1], s[4:5], 0x40
	s_mov_b32 s6, 0
	s_waitcnt vmcnt(0)
	v_mul_f32_e32 v26, v7, v8
	v_mul_f32_e64 v25, v7, -v9
	v_fmac_f32_e32 v26, v9, v6
	v_div_fixup_f32 v9, v24, v18, 1.0
	global_load_dwordx2 v[18:19], v[10:11], off
	global_load_dwordx2 v[20:21], v[16:17], off
                                        ; kill: killed $vgpr16 killed $vgpr17
                                        ; kill: killed $vgpr10 killed $vgpr11
	s_nop 0
	global_load_dwordx2 v[10:11], v[14:15], off
	v_fmac_f32_e32 v25, v8, v6
	v_mul_f32_e32 v8, v9, v22
	v_mul_f32_e32 v9, v23, v9
	s_waitcnt vmcnt(2)
	v_sub_f32_e32 v15, v18, v25
	s_waitcnt vmcnt(1)
	v_mul_f32_e64 v17, v9, -v21
	v_mul_f32_e32 v18, v9, v20
	v_sub_f32_e32 v16, v19, v26
	v_fmac_f32_e32 v17, v20, v8
	v_fmac_f32_e32 v18, v21, v8
	s_waitcnt vmcnt(0)
	v_mul_f32_e32 v14, v9, v11
	v_fma_f32 v14, -v10, v8, v14
	v_sub_f32_e32 v15, v15, v17
	v_sub_f32_e32 v16, v16, v18
	v_mul_f32_e64 v10, v9, -v10
	global_store_dwordx2 v[12:13], v[15:16], off
	v_fma_f32 v15, -v11, v8, v10
	s_waitcnt lgkmcnt(0)
	v_mov_b32_e32 v11, s1
	v_add_co_u32_e32 v10, vcc, s0, v0
	v_addc_co_u32_e32 v11, vcc, v11, v1, vcc
	global_store_dwordx2 v[10:11], v[14:15], off
	s_cbranch_scc1 .LBB71_3
; %bb.1:
	s_load_dwordx2 s[0:1], s[4:5], 0x48
	s_load_dwordx2 s[12:13], s[4:5], 0x28
	s_waitcnt lgkmcnt(0)
	v_mov_b32_e32 v11, s1
	v_add_co_u32_e32 v10, vcc, s0, v0
	s_ashr_i32 s1, s11, 31
	s_mov_b32 s0, s11
	v_addc_co_u32_e32 v11, vcc, v11, v1, vcc
	s_lshl_b64 s[4:5], s[0:1], 3
.LBB71_2:                               ; =>This Inner Loop Header: Depth=1
	v_mov_b32_e32 v15, s13
	v_add_co_u32_e32 v12, vcc, s12, v2
	v_add_co_u32_e64 v14, s[0:1], s12, v0
	v_add_co_u32_e64 v16, s[2:3], s12, v4
	v_addc_co_u32_e32 v13, vcc, v15, v3, vcc
	v_addc_co_u32_e64 v17, s[2:3], v15, v5, s[2:3]
	v_addc_co_u32_e64 v15, vcc, v15, v1, s[0:1]
	global_load_dwordx2 v[18:19], v[12:13], off
	global_load_dwordx2 v[20:21], v[16:17], off
	;; [unrolled: 1-line block ×3, first 2 shown]
	s_ashr_i32 s7, s6, 31
	s_lshl_b64 s[0:1], s[6:7], 3
	s_add_i32 s10, s10, -1
	s_add_i32 s6, s6, s9
	s_add_u32 s12, s12, s4
	v_mov_b32_e32 v13, s1
	v_add_co_u32_e32 v12, vcc, s0, v10
	s_addc_u32 s13, s13, s5
	v_addc_co_u32_e32 v13, vcc, v11, v13, vcc
	s_cmp_eq_u32 s10, 0
	s_waitcnt vmcnt(2)
	v_mul_f32_e64 v14, v7, -v19
	v_mul_f32_e32 v15, v7, v18
	v_fmac_f32_e32 v14, v18, v6
	v_fmac_f32_e32 v15, v19, v6
	s_waitcnt vmcnt(1)
	v_mul_f32_e64 v16, v9, -v21
	v_mul_f32_e32 v17, v9, v20
	v_fmac_f32_e32 v16, v20, v8
	v_fmac_f32_e32 v17, v21, v8
	s_waitcnt vmcnt(0)
	v_sub_f32_e32 v14, v22, v14
	v_sub_f32_e32 v15, v23, v15
	;; [unrolled: 1-line block ×4, first 2 shown]
	global_store_dwordx2 v[12:13], v[14:15], off
	s_cbranch_scc0 .LBB71_2
.LBB71_3:
	s_endpgm
	.section	.rodata,"a",@progbits
	.p2align	6, 0x0
	.amdhsa_kernel _ZN9rocsparseL35gtsv_nopivot_pcr_pow2_stage1_kernelILj256E21rocsparse_complex_numIfEEEviiiiPKT0_S5_S5_S5_PS3_S6_S6_S6_
		.amdhsa_group_segment_fixed_size 0
		.amdhsa_private_segment_fixed_size 0
		.amdhsa_kernarg_size 80
		.amdhsa_user_sgpr_count 6
		.amdhsa_user_sgpr_private_segment_buffer 1
		.amdhsa_user_sgpr_dispatch_ptr 0
		.amdhsa_user_sgpr_queue_ptr 0
		.amdhsa_user_sgpr_kernarg_segment_ptr 1
		.amdhsa_user_sgpr_dispatch_id 0
		.amdhsa_user_sgpr_flat_scratch_init 0
		.amdhsa_user_sgpr_private_segment_size 0
		.amdhsa_uses_dynamic_stack 0
		.amdhsa_system_sgpr_private_segment_wavefront_offset 0
		.amdhsa_system_sgpr_workgroup_id_x 1
		.amdhsa_system_sgpr_workgroup_id_y 0
		.amdhsa_system_sgpr_workgroup_id_z 0
		.amdhsa_system_sgpr_workgroup_info 0
		.amdhsa_system_vgpr_workitem_id 0
		.amdhsa_next_free_vgpr 27
		.amdhsa_next_free_sgpr 18
		.amdhsa_reserve_vcc 1
		.amdhsa_reserve_flat_scratch 0
		.amdhsa_float_round_mode_32 0
		.amdhsa_float_round_mode_16_64 0
		.amdhsa_float_denorm_mode_32 3
		.amdhsa_float_denorm_mode_16_64 3
		.amdhsa_dx10_clamp 1
		.amdhsa_ieee_mode 1
		.amdhsa_fp16_overflow 0
		.amdhsa_exception_fp_ieee_invalid_op 0
		.amdhsa_exception_fp_denorm_src 0
		.amdhsa_exception_fp_ieee_div_zero 0
		.amdhsa_exception_fp_ieee_overflow 0
		.amdhsa_exception_fp_ieee_underflow 0
		.amdhsa_exception_fp_ieee_inexact 0
		.amdhsa_exception_int_div_zero 0
	.end_amdhsa_kernel
	.section	.text._ZN9rocsparseL35gtsv_nopivot_pcr_pow2_stage1_kernelILj256E21rocsparse_complex_numIfEEEviiiiPKT0_S5_S5_S5_PS3_S6_S6_S6_,"axG",@progbits,_ZN9rocsparseL35gtsv_nopivot_pcr_pow2_stage1_kernelILj256E21rocsparse_complex_numIfEEEviiiiPKT0_S5_S5_S5_PS3_S6_S6_S6_,comdat
.Lfunc_end71:
	.size	_ZN9rocsparseL35gtsv_nopivot_pcr_pow2_stage1_kernelILj256E21rocsparse_complex_numIfEEEviiiiPKT0_S5_S5_S5_PS3_S6_S6_S6_, .Lfunc_end71-_ZN9rocsparseL35gtsv_nopivot_pcr_pow2_stage1_kernelILj256E21rocsparse_complex_numIfEEEviiiiPKT0_S5_S5_S5_PS3_S6_S6_S6_
                                        ; -- End function
	.set _ZN9rocsparseL35gtsv_nopivot_pcr_pow2_stage1_kernelILj256E21rocsparse_complex_numIfEEEviiiiPKT0_S5_S5_S5_PS3_S6_S6_S6_.num_vgpr, 27
	.set _ZN9rocsparseL35gtsv_nopivot_pcr_pow2_stage1_kernelILj256E21rocsparse_complex_numIfEEEviiiiPKT0_S5_S5_S5_PS3_S6_S6_S6_.num_agpr, 0
	.set _ZN9rocsparseL35gtsv_nopivot_pcr_pow2_stage1_kernelILj256E21rocsparse_complex_numIfEEEviiiiPKT0_S5_S5_S5_PS3_S6_S6_S6_.numbered_sgpr, 18
	.set _ZN9rocsparseL35gtsv_nopivot_pcr_pow2_stage1_kernelILj256E21rocsparse_complex_numIfEEEviiiiPKT0_S5_S5_S5_PS3_S6_S6_S6_.num_named_barrier, 0
	.set _ZN9rocsparseL35gtsv_nopivot_pcr_pow2_stage1_kernelILj256E21rocsparse_complex_numIfEEEviiiiPKT0_S5_S5_S5_PS3_S6_S6_S6_.private_seg_size, 0
	.set _ZN9rocsparseL35gtsv_nopivot_pcr_pow2_stage1_kernelILj256E21rocsparse_complex_numIfEEEviiiiPKT0_S5_S5_S5_PS3_S6_S6_S6_.uses_vcc, 1
	.set _ZN9rocsparseL35gtsv_nopivot_pcr_pow2_stage1_kernelILj256E21rocsparse_complex_numIfEEEviiiiPKT0_S5_S5_S5_PS3_S6_S6_S6_.uses_flat_scratch, 0
	.set _ZN9rocsparseL35gtsv_nopivot_pcr_pow2_stage1_kernelILj256E21rocsparse_complex_numIfEEEviiiiPKT0_S5_S5_S5_PS3_S6_S6_S6_.has_dyn_sized_stack, 0
	.set _ZN9rocsparseL35gtsv_nopivot_pcr_pow2_stage1_kernelILj256E21rocsparse_complex_numIfEEEviiiiPKT0_S5_S5_S5_PS3_S6_S6_S6_.has_recursion, 0
	.set _ZN9rocsparseL35gtsv_nopivot_pcr_pow2_stage1_kernelILj256E21rocsparse_complex_numIfEEEviiiiPKT0_S5_S5_S5_PS3_S6_S6_S6_.has_indirect_call, 0
	.section	.AMDGPU.csdata,"",@progbits
; Kernel info:
; codeLenInByte = 944
; TotalNumSgprs: 22
; NumVgprs: 27
; ScratchSize: 0
; MemoryBound: 0
; FloatMode: 240
; IeeeMode: 1
; LDSByteSize: 0 bytes/workgroup (compile time only)
; SGPRBlocks: 2
; VGPRBlocks: 6
; NumSGPRsForWavesPerEU: 22
; NumVGPRsForWavesPerEU: 27
; Occupancy: 9
; WaveLimiterHint : 0
; COMPUTE_PGM_RSRC2:SCRATCH_EN: 0
; COMPUTE_PGM_RSRC2:USER_SGPR: 6
; COMPUTE_PGM_RSRC2:TRAP_HANDLER: 0
; COMPUTE_PGM_RSRC2:TGID_X_EN: 1
; COMPUTE_PGM_RSRC2:TGID_Y_EN: 0
; COMPUTE_PGM_RSRC2:TGID_Z_EN: 0
; COMPUTE_PGM_RSRC2:TIDIG_COMP_CNT: 0
	.section	.text._ZN9rocsparseL38gtsv_nopivot_thomas_pow2_stage2_kernelILj256ELj512E21rocsparse_complex_numIfEEEviiiiPKT1_S5_S5_S5_PS3_S6_S6_S6_S6_,"axG",@progbits,_ZN9rocsparseL38gtsv_nopivot_thomas_pow2_stage2_kernelILj256ELj512E21rocsparse_complex_numIfEEEviiiiPKT1_S5_S5_S5_PS3_S6_S6_S6_S6_,comdat
	.globl	_ZN9rocsparseL38gtsv_nopivot_thomas_pow2_stage2_kernelILj256ELj512E21rocsparse_complex_numIfEEEviiiiPKT1_S5_S5_S5_PS3_S6_S6_S6_S6_ ; -- Begin function _ZN9rocsparseL38gtsv_nopivot_thomas_pow2_stage2_kernelILj256ELj512E21rocsparse_complex_numIfEEEviiiiPKT1_S5_S5_S5_PS3_S6_S6_S6_S6_
	.p2align	8
	.type	_ZN9rocsparseL38gtsv_nopivot_thomas_pow2_stage2_kernelILj256ELj512E21rocsparse_complex_numIfEEEviiiiPKT1_S5_S5_S5_PS3_S6_S6_S6_S6_,@function
_ZN9rocsparseL38gtsv_nopivot_thomas_pow2_stage2_kernelILj256ELj512E21rocsparse_complex_numIfEEEviiiiPKT1_S5_S5_S5_PS3_S6_S6_S6_S6_: ; @_ZN9rocsparseL38gtsv_nopivot_thomas_pow2_stage2_kernelILj256ELj512E21rocsparse_complex_numIfEEEviiiiPKT1_S5_S5_S5_PS3_S6_S6_S6_S6_
; %bb.0:
	s_load_dwordx2 s[18:19], s[4:5], 0x0
	s_lshl_b32 s6, s6, 8
	v_or_b32_e32 v3, s6, v0
	s_waitcnt lgkmcnt(0)
	v_cmp_gt_i32_e32 vcc, s18, v3
	s_and_saveexec_b64 s[0:1], vcc
	s_cbranch_execz .LBB72_7
; %bb.1:
	s_load_dwordx8 s[8:15], s[4:5], 0x10
	v_ashrrev_i32_e32 v4, 31, v3
	v_lshlrev_b64 v[8:9], 3, v[3:4]
	s_mul_i32 s24, s19, s7
	s_add_i32 s20, s6, s18
	s_waitcnt lgkmcnt(0)
	v_mov_b32_e32 v2, s11
	v_add_co_u32_e32 v1, vcc, s10, v8
	v_addc_co_u32_e32 v2, vcc, v2, v9, vcc
	global_load_dwordx2 v[1:2], v[1:2], off
	v_mov_b32_e32 v5, s13
	v_add_co_u32_e32 v4, vcc, s12, v8
	v_addc_co_u32_e32 v5, vcc, v5, v9, vcc
	global_load_dwordx2 v[6:7], v[4:5], off
	v_add_u32_e32 v4, s24, v3
	v_mov_b32_e32 v5, 0
	v_lshlrev_b64 v[10:11], 3, v[4:5]
	v_mov_b32_e32 v4, s15
	v_add_co_u32_e32 v12, vcc, s14, v10
	v_addc_co_u32_e32 v13, vcc, v4, v11, vcc
	global_load_dwordx2 v[12:13], v[12:13], off
	s_ashr_i32 s19, s18, 31
	s_movk_i32 s25, 0x1ff
	s_mov_b32 s22, 0
	s_waitcnt vmcnt(2)
	v_mul_f32_e32 v4, v2, v2
	v_fmac_f32_e32 v4, v1, v1
	v_div_scale_f32 v14, s[0:1], v4, v4, 1.0
	v_div_scale_f32 v15, vcc, 1.0, v4, 1.0
	s_waitcnt vmcnt(1)
	v_mul_f32_e32 v16, v2, v7
	v_mul_f32_e64 v17, v2, -v6
	v_fmac_f32_e32 v16, v6, v1
	v_fmac_f32_e32 v17, v7, v1
	s_load_dwordx2 s[16:17], s[4:5], 0x50
	s_load_dwordx4 s[0:3], s[4:5], 0x40
	v_add_u32_e32 v7, s20, v0
	s_lshl_b64 s[20:21], s[18:19], 3
	s_waitcnt vmcnt(0)
	v_mul_f32_e32 v18, v2, v13
	v_mul_f32_e64 v19, v2, -v12
	v_fmac_f32_e32 v18, v12, v1
	v_fmac_f32_e32 v19, v13, v1
	v_rcp_f32_e32 v1, v14
	s_waitcnt lgkmcnt(0)
	v_mov_b32_e32 v13, s3
	v_fma_f32 v2, -v14, v1, 1.0
	v_fmac_f32_e32 v1, v2, v1
	v_mul_f32_e32 v2, v15, v1
	v_fma_f32 v6, -v14, v2, v15
	v_fmac_f32_e32 v2, v6, v1
	v_fma_f32 v12, -v14, v2, v15
	v_div_fmas_f32 v14, v12, v1, v2
	v_add_co_u32_e32 v12, vcc, s2, v10
	v_addc_co_u32_e32 v13, vcc, v13, v11, vcc
	v_mov_b32_e32 v2, s1
	v_add_co_u32_e32 v1, vcc, s0, v8
	v_addc_co_u32_e32 v2, vcc, v2, v9, vcc
	v_mov_b32_e32 v6, s21
	v_add_co_u32_e32 v8, vcc, s20, v8
	v_addc_co_u32_e32 v9, vcc, v6, v9, vcc
	v_add_u32_e32 v6, s24, v0
	v_div_fixup_f32 v4, v14, v4, 1.0
	v_add_u32_e32 v10, s24, v7
	v_mul_f32_e32 v14, v4, v16
	v_mul_f32_e32 v15, v17, v4
	v_add_u32_e32 v11, s6, v6
	v_mul_f32_e32 v16, v4, v18
	v_mul_f32_e32 v17, v4, v19
	global_store_dwordx2 v[1:2], v[14:15], off
	global_store_dwordx2 v[12:13], v[16:17], off
.LBB72_2:                               ; =>This Inner Loop Header: Depth=1
	v_add_u32_e32 v12, s22, v7
	v_ashrrev_i32_e32 v13, 31, v12
	v_lshlrev_b64 v[12:13], 3, v[12:13]
	s_ashr_i32 s23, s22, 31
	v_mov_b32_e32 v18, s9
	v_add_u32_e32 v4, s22, v10
	v_add_co_u32_e32 v12, vcc, s8, v12
	s_lshl_b64 s[26:27], s[22:23], 3
	v_lshlrev_b64 v[14:15], 3, v[4:5]
	v_add_u32_e32 v4, s22, v11
	v_addc_co_u32_e32 v13, vcc, v18, v13, vcc
	v_mov_b32_e32 v19, s27
	v_lshlrev_b64 v[16:17], 3, v[4:5]
	v_add_co_u32_e32 v18, vcc, s26, v1
	v_addc_co_u32_e32 v19, vcc, v2, v19, vcc
	v_mov_b32_e32 v24, s3
	v_add_co_u32_e32 v16, vcc, s2, v16
	v_addc_co_u32_e32 v17, vcc, v24, v17, vcc
	global_load_dwordx2 v[18:19], v[18:19], off
	s_nop 0
	global_load_dwordx2 v[20:21], v[12:13], off
	global_load_dwordx2 v[22:23], v[16:17], off
	v_mov_b32_e32 v13, s15
	v_add_co_u32_e32 v12, vcc, s14, v14
	v_addc_co_u32_e32 v13, vcc, v13, v15, vcc
	v_add_co_u32_e32 v14, vcc, s2, v14
	v_addc_co_u32_e32 v15, vcc, v24, v15, vcc
	v_mov_b32_e32 v17, s11
	v_add_co_u32_e32 v16, vcc, s10, v8
	v_addc_co_u32_e32 v17, vcc, v17, v9, vcc
	global_load_dwordx2 v[16:17], v[16:17], off
	s_nop 0
	global_load_dwordx2 v[12:13], v[12:13], off
	s_add_i32 s25, s25, -1
	s_add_i32 s22, s22, s18
	s_cmp_eq_u32 s25, 0
	s_waitcnt vmcnt(3)
	v_mul_f32_e64 v4, v21, -v19
	v_mul_f32_e32 v25, v21, v18
	v_fmac_f32_e32 v4, v18, v20
	v_fmac_f32_e32 v25, v19, v20
	s_waitcnt vmcnt(2)
	v_mul_f32_e64 v18, v21, -v23
	v_mul_f32_e32 v19, v21, v22
	v_fmac_f32_e32 v18, v22, v20
	v_fmac_f32_e32 v19, v23, v20
	s_waitcnt vmcnt(1)
	v_sub_f32_e32 v4, v16, v4
	v_sub_f32_e32 v16, v17, v25
	v_mul_f32_e32 v17, v16, v16
	v_fmac_f32_e32 v17, v4, v4
	s_waitcnt vmcnt(0)
	v_sub_f32_e32 v20, v12, v18
	v_div_scale_f32 v12, s[26:27], v17, v17, 1.0
	v_sub_f32_e32 v21, v13, v19
	v_div_scale_f32 v13, vcc, 1.0, v17, 1.0
	v_rcp_f32_e32 v18, v12
	v_fma_f32 v19, -v12, v18, 1.0
	v_fmac_f32_e32 v18, v19, v18
	v_mul_f32_e32 v19, v13, v18
	v_fma_f32 v22, -v12, v19, v13
	v_fmac_f32_e32 v19, v22, v18
	v_fma_f32 v12, -v12, v19, v13
	v_mov_b32_e32 v13, s13
	v_div_fmas_f32 v18, v12, v18, v19
	v_add_co_u32_e32 v12, vcc, s12, v8
	v_addc_co_u32_e32 v13, vcc, v13, v9, vcc
	global_load_dwordx2 v[12:13], v[12:13], off
	v_fma_f32 v19, 0, v16, v4
	v_fma_f32 v4, v4, 0, -v16
	v_mov_b32_e32 v22, s1
	v_div_fixup_f32 v16, v18, v17, 1.0
	v_mul_f32_e32 v4, v4, v16
	v_mul_f32_e32 v23, v19, v16
	v_mov_b32_e32 v18, s21
	v_mul_f32_e32 v19, v4, v20
	v_fmac_f32_e32 v19, v21, v23
	s_waitcnt vmcnt(0)
	v_mul_f32_e64 v16, v4, -v13
	v_mul_f32_e32 v17, v4, v12
	v_fmac_f32_e32 v16, v12, v23
	v_add_co_u32_e32 v12, vcc, s0, v8
	v_fmac_f32_e32 v17, v13, v23
	v_addc_co_u32_e32 v13, vcc, v22, v9, vcc
	v_add_co_u32_e32 v8, vcc, s20, v8
	v_addc_co_u32_e32 v9, vcc, v9, v18, vcc
	v_mul_f32_e64 v18, v4, -v21
	v_fmac_f32_e32 v18, v20, v23
	global_store_dwordx2 v[12:13], v[16:17], off
	global_store_dwordx2 v[14:15], v[18:19], off
	s_cbranch_scc0 .LBB72_2
; %bb.3:
	s_mul_i32 s0, s18, 0x1ff
	v_add_u32_e32 v5, s0, v3
	v_add_u32_e32 v3, s24, v5
	v_mov_b32_e32 v4, 0
	v_lshlrev_b64 v[7:8], 3, v[3:4]
	v_mov_b32_e32 v3, s3
	v_add_co_u32_e32 v7, vcc, s2, v7
	v_addc_co_u32_e32 v8, vcc, v3, v8, vcc
	global_load_dwordx2 v[15:16], v[7:8], off
	s_load_dword s1, s[4:5], 0xc
	s_mul_i32 s4, s18, 0x1fe
	s_mul_i32 s8, s18, 0x1fc
	;; [unrolled: 1-line block ×4, first 2 shown]
	s_waitcnt lgkmcnt(0)
	s_mul_i32 s1, s1, s7
	s_add_i32 s12, s6, s4
	s_add_i32 s13, s6, s8
	;; [unrolled: 1-line block ×4, first 2 shown]
	v_add_u32_e32 v3, s1, v5
	v_add_u32_e32 v7, s13, v6
	;; [unrolled: 1-line block ×5, first 2 shown]
	v_lshlrev_b64 v[5:6], 3, v[3:4]
	v_mov_b32_e32 v17, s17
	s_add_i32 s6, s6, s0
	v_add_u32_e32 v14, s1, v0
	v_add_co_u32_e32 v5, vcc, s16, v5
	s_lshl_b32 s5, s18, 2
	s_movk_i32 s11, 0xfe04
	v_add_u32_e32 v0, s12, v14
	v_add_u32_e32 v11, s13, v14
	;; [unrolled: 1-line block ×5, first 2 shown]
	v_addc_co_u32_e32 v6, vcc, v17, v6, vcc
	s_mov_b32 s6, 0
	s_waitcnt vmcnt(0)
	global_store_dwordx2 v[5:6], v[15:16], off
	s_branch .LBB72_5
.LBB72_4:                               ;   in Loop: Header=BB72_5 Depth=1
	s_add_i32 s0, s10, s6
	s_ashr_i32 s1, s0, 31
	v_add_u32_e32 v3, s6, v8
	s_lshl_b64 s[0:1], s[0:1], 3
	v_lshlrev_b64 v[15:16], 3, v[3:4]
	v_mov_b32_e32 v18, s1
	v_add_co_u32_e32 v17, vcc, s0, v1
	v_addc_co_u32_e32 v18, vcc, v2, v18, vcc
	v_mov_b32_e32 v3, s3
	global_load_dwordx2 v[17:18], v[17:18], off
	v_add_co_u32_e32 v15, vcc, s2, v15
	v_addc_co_u32_e32 v16, vcc, v3, v16, vcc
	global_load_dwordx2 v[15:16], v[15:16], off
	v_add_u32_e32 v3, s6, v13
	v_lshlrev_b64 v[19:20], 3, v[3:4]
	v_mov_b32_e32 v21, s17
	v_add_co_u32_e32 v19, vcc, s16, v19
	s_add_i32 s11, s11, 4
	s_sub_i32 s6, s6, s5
	v_addc_co_u32_e32 v20, vcc, v21, v20, vcc
	s_waitcnt vmcnt(1)
	v_mul_f32_e64 v3, v6, -v18
	v_mul_f32_e32 v6, v6, v17
	v_fmac_f32_e32 v3, v17, v5
	v_fmac_f32_e32 v6, v18, v5
	s_waitcnt vmcnt(0)
	v_sub_f32_e32 v5, v15, v3
	v_sub_f32_e32 v6, v16, v6
	global_store_dwordx2 v[19:20], v[5:6], off
	s_cbranch_execz .LBB72_7
.LBB72_5:                               ; =>This Inner Loop Header: Depth=1
	s_add_i32 s0, s4, s6
	s_ashr_i32 s1, s0, 31
	v_add_u32_e32 v3, s6, v10
	s_lshl_b64 s[0:1], s[0:1], 3
	v_lshlrev_b64 v[5:6], 3, v[3:4]
	v_mov_b32_e32 v3, s1
	v_add_co_u32_e32 v15, vcc, s0, v1
	v_addc_co_u32_e32 v16, vcc, v2, v3, vcc
	v_add_u32_e32 v3, s6, v14
	v_lshlrev_b64 v[17:18], 3, v[3:4]
	v_mov_b32_e32 v23, s17
	v_add_co_u32_e32 v17, vcc, s16, v17
	v_addc_co_u32_e32 v18, vcc, v23, v18, vcc
	global_load_dwordx2 v[19:20], v[15:16], off
	global_load_dwordx2 v[21:22], v[17:18], off
	v_add_co_u32_e32 v5, vcc, s2, v5
	v_add_u32_e32 v3, s6, v0
	v_lshlrev_b64 v[15:16], 3, v[3:4]
	s_add_i32 s0, s9, s6
	s_ashr_i32 s1, s0, 31
	s_lshl_b64 s[0:1], s[0:1], 3
	v_mov_b32_e32 v3, s1
	s_waitcnt vmcnt(0)
	v_mul_f32_e64 v17, v22, -v20
	v_mul_f32_e32 v18, v22, v19
	v_fmac_f32_e32 v17, v19, v21
	v_mov_b32_e32 v19, s3
	v_addc_co_u32_e32 v6, vcc, v19, v6, vcc
	global_load_dwordx2 v[5:6], v[5:6], off
	v_add_co_u32_e32 v15, vcc, s16, v15
	v_addc_co_u32_e32 v16, vcc, v23, v16, vcc
	v_fmac_f32_e32 v18, v20, v21
	s_waitcnt vmcnt(0)
	v_sub_f32_e32 v5, v5, v17
	v_add_co_u32_e32 v17, vcc, s0, v1
	v_sub_f32_e32 v6, v6, v18
	v_addc_co_u32_e32 v18, vcc, v2, v3, vcc
	global_load_dwordx2 v[17:18], v[17:18], off
	v_add_u32_e32 v3, s6, v9
	global_store_dwordx2 v[15:16], v[5:6], off
	s_add_i32 s0, s8, s6
	s_ashr_i32 s1, s0, 31
	s_lshl_b64 s[0:1], s[0:1], 3
	s_cmp_eq_u32 s11, 0
	s_waitcnt vmcnt(1)
	v_mul_f32_e64 v20, v6, -v18
	v_mul_f32_e32 v21, v6, v17
	v_fmac_f32_e32 v20, v17, v5
	v_fmac_f32_e32 v21, v18, v5
	v_lshlrev_b64 v[5:6], 3, v[3:4]
	v_add_u32_e32 v3, s6, v12
	v_add_co_u32_e32 v5, vcc, s2, v5
	v_addc_co_u32_e32 v6, vcc, v19, v6, vcc
	global_load_dwordx2 v[5:6], v[5:6], off
	v_lshlrev_b64 v[15:16], 3, v[3:4]
	v_add_u32_e32 v3, s6, v7
	v_lshlrev_b64 v[17:18], 3, v[3:4]
	v_mov_b32_e32 v3, s1
	v_add_co_u32_e32 v17, vcc, s2, v17
	v_addc_co_u32_e32 v18, vcc, v19, v18, vcc
	v_add_co_u32_e32 v15, vcc, s16, v15
	v_addc_co_u32_e32 v16, vcc, v23, v16, vcc
	v_add_co_u32_e32 v19, vcc, s0, v1
	s_waitcnt vmcnt(0)
	v_sub_f32_e32 v5, v5, v20
	v_addc_co_u32_e32 v20, vcc, v2, v3, vcc
	global_load_dwordx2 v[19:20], v[19:20], off
	s_nop 0
	global_load_dwordx2 v[17:18], v[17:18], off
	v_sub_f32_e32 v6, v6, v21
	v_add_u32_e32 v3, s6, v11
	global_store_dwordx2 v[15:16], v[5:6], off
	v_lshlrev_b64 v[15:16], 3, v[3:4]
	v_add_co_u32_e32 v15, vcc, s16, v15
	v_addc_co_u32_e32 v16, vcc, v23, v16, vcc
	s_waitcnt vmcnt(2)
	v_mul_f32_e64 v21, v6, -v20
	v_mul_f32_e32 v6, v6, v19
	v_fmac_f32_e32 v21, v19, v5
	v_fmac_f32_e32 v6, v20, v5
	s_waitcnt vmcnt(1)
	v_sub_f32_e32 v5, v17, v21
	v_sub_f32_e32 v6, v18, v6
	global_store_dwordx2 v[15:16], v[5:6], off
	s_cbranch_scc0 .LBB72_4
; %bb.6:
                                        ; implicit-def: $sgpr11
                                        ; implicit-def: $sgpr6
.LBB72_7:
	s_endpgm
	.section	.rodata,"a",@progbits
	.p2align	6, 0x0
	.amdhsa_kernel _ZN9rocsparseL38gtsv_nopivot_thomas_pow2_stage2_kernelILj256ELj512E21rocsparse_complex_numIfEEEviiiiPKT1_S5_S5_S5_PS3_S6_S6_S6_S6_
		.amdhsa_group_segment_fixed_size 0
		.amdhsa_private_segment_fixed_size 0
		.amdhsa_kernarg_size 88
		.amdhsa_user_sgpr_count 6
		.amdhsa_user_sgpr_private_segment_buffer 1
		.amdhsa_user_sgpr_dispatch_ptr 0
		.amdhsa_user_sgpr_queue_ptr 0
		.amdhsa_user_sgpr_kernarg_segment_ptr 1
		.amdhsa_user_sgpr_dispatch_id 0
		.amdhsa_user_sgpr_flat_scratch_init 0
		.amdhsa_user_sgpr_private_segment_size 0
		.amdhsa_uses_dynamic_stack 0
		.amdhsa_system_sgpr_private_segment_wavefront_offset 0
		.amdhsa_system_sgpr_workgroup_id_x 1
		.amdhsa_system_sgpr_workgroup_id_y 1
		.amdhsa_system_sgpr_workgroup_id_z 0
		.amdhsa_system_sgpr_workgroup_info 0
		.amdhsa_system_vgpr_workitem_id 0
		.amdhsa_next_free_vgpr 26
		.amdhsa_next_free_sgpr 28
		.amdhsa_reserve_vcc 1
		.amdhsa_reserve_flat_scratch 0
		.amdhsa_float_round_mode_32 0
		.amdhsa_float_round_mode_16_64 0
		.amdhsa_float_denorm_mode_32 3
		.amdhsa_float_denorm_mode_16_64 3
		.amdhsa_dx10_clamp 1
		.amdhsa_ieee_mode 1
		.amdhsa_fp16_overflow 0
		.amdhsa_exception_fp_ieee_invalid_op 0
		.amdhsa_exception_fp_denorm_src 0
		.amdhsa_exception_fp_ieee_div_zero 0
		.amdhsa_exception_fp_ieee_overflow 0
		.amdhsa_exception_fp_ieee_underflow 0
		.amdhsa_exception_fp_ieee_inexact 0
		.amdhsa_exception_int_div_zero 0
	.end_amdhsa_kernel
	.section	.text._ZN9rocsparseL38gtsv_nopivot_thomas_pow2_stage2_kernelILj256ELj512E21rocsparse_complex_numIfEEEviiiiPKT1_S5_S5_S5_PS3_S6_S6_S6_S6_,"axG",@progbits,_ZN9rocsparseL38gtsv_nopivot_thomas_pow2_stage2_kernelILj256ELj512E21rocsparse_complex_numIfEEEviiiiPKT1_S5_S5_S5_PS3_S6_S6_S6_S6_,comdat
.Lfunc_end72:
	.size	_ZN9rocsparseL38gtsv_nopivot_thomas_pow2_stage2_kernelILj256ELj512E21rocsparse_complex_numIfEEEviiiiPKT1_S5_S5_S5_PS3_S6_S6_S6_S6_, .Lfunc_end72-_ZN9rocsparseL38gtsv_nopivot_thomas_pow2_stage2_kernelILj256ELj512E21rocsparse_complex_numIfEEEviiiiPKT1_S5_S5_S5_PS3_S6_S6_S6_S6_
                                        ; -- End function
	.set _ZN9rocsparseL38gtsv_nopivot_thomas_pow2_stage2_kernelILj256ELj512E21rocsparse_complex_numIfEEEviiiiPKT1_S5_S5_S5_PS3_S6_S6_S6_S6_.num_vgpr, 26
	.set _ZN9rocsparseL38gtsv_nopivot_thomas_pow2_stage2_kernelILj256ELj512E21rocsparse_complex_numIfEEEviiiiPKT1_S5_S5_S5_PS3_S6_S6_S6_S6_.num_agpr, 0
	.set _ZN9rocsparseL38gtsv_nopivot_thomas_pow2_stage2_kernelILj256ELj512E21rocsparse_complex_numIfEEEviiiiPKT1_S5_S5_S5_PS3_S6_S6_S6_S6_.numbered_sgpr, 28
	.set _ZN9rocsparseL38gtsv_nopivot_thomas_pow2_stage2_kernelILj256ELj512E21rocsparse_complex_numIfEEEviiiiPKT1_S5_S5_S5_PS3_S6_S6_S6_S6_.num_named_barrier, 0
	.set _ZN9rocsparseL38gtsv_nopivot_thomas_pow2_stage2_kernelILj256ELj512E21rocsparse_complex_numIfEEEviiiiPKT1_S5_S5_S5_PS3_S6_S6_S6_S6_.private_seg_size, 0
	.set _ZN9rocsparseL38gtsv_nopivot_thomas_pow2_stage2_kernelILj256ELj512E21rocsparse_complex_numIfEEEviiiiPKT1_S5_S5_S5_PS3_S6_S6_S6_S6_.uses_vcc, 1
	.set _ZN9rocsparseL38gtsv_nopivot_thomas_pow2_stage2_kernelILj256ELj512E21rocsparse_complex_numIfEEEviiiiPKT1_S5_S5_S5_PS3_S6_S6_S6_S6_.uses_flat_scratch, 0
	.set _ZN9rocsparseL38gtsv_nopivot_thomas_pow2_stage2_kernelILj256ELj512E21rocsparse_complex_numIfEEEviiiiPKT1_S5_S5_S5_PS3_S6_S6_S6_S6_.has_dyn_sized_stack, 0
	.set _ZN9rocsparseL38gtsv_nopivot_thomas_pow2_stage2_kernelILj256ELj512E21rocsparse_complex_numIfEEEviiiiPKT1_S5_S5_S5_PS3_S6_S6_S6_S6_.has_recursion, 0
	.set _ZN9rocsparseL38gtsv_nopivot_thomas_pow2_stage2_kernelILj256ELj512E21rocsparse_complex_numIfEEEviiiiPKT1_S5_S5_S5_PS3_S6_S6_S6_S6_.has_indirect_call, 0
	.section	.AMDGPU.csdata,"",@progbits
; Kernel info:
; codeLenInByte = 1628
; TotalNumSgprs: 32
; NumVgprs: 26
; ScratchSize: 0
; MemoryBound: 0
; FloatMode: 240
; IeeeMode: 1
; LDSByteSize: 0 bytes/workgroup (compile time only)
; SGPRBlocks: 3
; VGPRBlocks: 6
; NumSGPRsForWavesPerEU: 32
; NumVGPRsForWavesPerEU: 26
; Occupancy: 9
; WaveLimiterHint : 0
; COMPUTE_PGM_RSRC2:SCRATCH_EN: 0
; COMPUTE_PGM_RSRC2:USER_SGPR: 6
; COMPUTE_PGM_RSRC2:TRAP_HANDLER: 0
; COMPUTE_PGM_RSRC2:TGID_X_EN: 1
; COMPUTE_PGM_RSRC2:TGID_Y_EN: 1
; COMPUTE_PGM_RSRC2:TGID_Z_EN: 0
; COMPUTE_PGM_RSRC2:TIDIG_COMP_CNT: 0
	.section	.text._ZN9rocsparseL30gtsv_nopivot_pcr_stage1_kernelILj256E21rocsparse_complex_numIfEEEviiiiPKT0_S5_S5_S5_PS3_S6_S6_S6_,"axG",@progbits,_ZN9rocsparseL30gtsv_nopivot_pcr_stage1_kernelILj256E21rocsparse_complex_numIfEEEviiiiPKT0_S5_S5_S5_PS3_S6_S6_S6_,comdat
	.globl	_ZN9rocsparseL30gtsv_nopivot_pcr_stage1_kernelILj256E21rocsparse_complex_numIfEEEviiiiPKT0_S5_S5_S5_PS3_S6_S6_S6_ ; -- Begin function _ZN9rocsparseL30gtsv_nopivot_pcr_stage1_kernelILj256E21rocsparse_complex_numIfEEEviiiiPKT0_S5_S5_S5_PS3_S6_S6_S6_
	.p2align	8
	.type	_ZN9rocsparseL30gtsv_nopivot_pcr_stage1_kernelILj256E21rocsparse_complex_numIfEEEviiiiPKT0_S5_S5_S5_PS3_S6_S6_S6_,@function
_ZN9rocsparseL30gtsv_nopivot_pcr_stage1_kernelILj256E21rocsparse_complex_numIfEEEviiiiPKT0_S5_S5_S5_PS3_S6_S6_S6_: ; @_ZN9rocsparseL30gtsv_nopivot_pcr_stage1_kernelILj256E21rocsparse_complex_numIfEEEviiiiPKT0_S5_S5_S5_PS3_S6_S6_S6_
; %bb.0:
	s_load_dwordx4 s[8:11], s[4:5], 0x0
	v_lshl_or_b32 v4, s6, 8, v0
	s_waitcnt lgkmcnt(0)
	v_cmp_gt_i32_e32 vcc, s9, v4
	s_and_saveexec_b64 s[0:1], vcc
	s_cbranch_execz .LBB73_4
; %bb.1:
	s_load_dwordx4 s[0:3], s[4:5], 0x10
	s_load_dwordx2 s[6:7], s[4:5], 0x20
	v_subrev_u32_e32 v0, s8, v4
	v_max_i32_e32 v0, 0, v0
	v_mov_b32_e32 v1, 0
	v_lshlrev_b64 v[0:1], 3, v[0:1]
	s_waitcnt lgkmcnt(0)
	v_mov_b32_e32 v3, s3
	v_add_co_u32_e32 v2, vcc, s2, v0
	v_addc_co_u32_e32 v3, vcc, v3, v1, vcc
	global_load_dwordx2 v[6:7], v[2:3], off
	v_ashrrev_i32_e32 v5, 31, v4
	v_lshlrev_b64 v[2:3], 3, v[4:5]
	v_mov_b32_e32 v5, s1
	v_add_co_u32_e32 v8, vcc, s0, v2
	v_addc_co_u32_e32 v9, vcc, v5, v3, vcc
	global_load_dwordx2 v[8:9], v[8:9], off
	v_add_u32_e32 v4, s8, v4
	s_add_i32 s8, s9, -1
	v_min_i32_e32 v4, s8, v4
	v_ashrrev_i32_e32 v5, 31, v4
	v_lshlrev_b64 v[4:5], 3, v[4:5]
	v_mov_b32_e32 v11, s7
	v_add_co_u32_e32 v10, vcc, s6, v2
	v_addc_co_u32_e32 v11, vcc, v11, v3, vcc
	v_mov_b32_e32 v13, s3
	v_add_co_u32_e32 v12, vcc, s2, v4
	v_addc_co_u32_e32 v13, vcc, v13, v5, vcc
	v_mov_b32_e32 v14, s1
	v_mov_b32_e32 v15, s7
	s_cmp_lt_i32 s10, 1
	s_waitcnt vmcnt(1)
	v_mul_f32_e32 v18, v7, v7
	v_fmac_f32_e32 v18, v6, v6
	v_div_scale_f32 v16, s[12:13], v18, v18, 1.0
	s_waitcnt vmcnt(0)
	v_mul_f32_e32 v19, v7, v9
	v_mul_f32_e64 v20, v7, -v8
	v_fmac_f32_e32 v19, v8, v6
	v_fmac_f32_e32 v20, v9, v6
	v_add_co_u32_e32 v6, vcc, s0, v0
	v_addc_co_u32_e32 v7, vcc, v14, v1, vcc
	v_add_co_u32_e32 v8, vcc, s6, v0
	v_rcp_f32_e32 v21, v16
	v_addc_co_u32_e32 v9, vcc, v15, v1, vcc
	v_fma_f32 v14, -v16, v21, 1.0
	v_fmac_f32_e32 v21, v14, v21
	v_div_scale_f32 v14, vcc, 1.0, v18, 1.0
	v_mul_f32_e32 v22, v14, v21
	v_fma_f32 v15, -v16, v22, v14
	v_fmac_f32_e32 v22, v15, v21
	v_fma_f32 v23, -v16, v22, v14
	global_load_dwordx2 v[14:15], v[10:11], off
	global_load_dwordx2 v[16:17], v[12:13], off
                                        ; kill: killed $vgpr10 killed $vgpr11
                                        ; kill: killed $vgpr12 killed $vgpr13
	s_nop 0
	global_load_dwordx2 v[10:11], v[6:7], off
	global_load_dwordx2 v[12:13], v[8:9], off
	v_div_fmas_f32 v6, v23, v21, v22
	v_div_fixup_f32 v7, v6, v18, 1.0
	v_mul_f32_e32 v6, v7, v19
	v_mul_f32_e32 v7, v20, v7
	s_waitcnt vmcnt(2)
	v_mul_f32_e32 v21, v17, v17
	v_mul_f32_e32 v8, v17, v15
	v_fmac_f32_e32 v21, v16, v16
	v_mul_f32_e64 v9, v17, -v14
	v_fmac_f32_e32 v8, v14, v16
	v_div_scale_f32 v14, s[12:13], v21, v21, 1.0
	v_fmac_f32_e32 v9, v15, v16
	v_div_scale_f32 v15, vcc, 1.0, v21, 1.0
	s_waitcnt vmcnt(1)
	v_mul_f32_e32 v16, v7, v11
	v_mul_f32_e64 v17, v7, -v10
	v_fma_f32 v10, -v10, v6, v16
	v_fma_f32 v11, -v11, v6, v17
	s_waitcnt vmcnt(0)
	v_mul_f32_e64 v22, v7, -v13
	v_mul_f32_e32 v23, v7, v12
	v_fmac_f32_e32 v22, v12, v6
	v_fmac_f32_e32 v23, v13, v6
	v_rcp_f32_e32 v16, v14
	v_fma_f32 v17, -v14, v16, 1.0
	v_fmac_f32_e32 v16, v17, v16
	v_mul_f32_e32 v17, v15, v16
	v_fma_f32 v18, -v14, v17, v15
	v_fmac_f32_e32 v17, v18, v16
	v_fma_f32 v14, -v14, v17, v15
	v_div_fmas_f32 v19, v14, v16, v17
	v_mov_b32_e32 v18, s7
	v_add_co_u32_e32 v12, vcc, s6, v4
	v_addc_co_u32_e32 v13, vcc, v18, v5, vcc
	v_mov_b32_e32 v15, s3
	v_add_co_u32_e32 v14, vcc, s2, v2
	v_addc_co_u32_e32 v15, vcc, v15, v3, vcc
	;; [unrolled: 3-line block ×3, first 2 shown]
	v_div_fixup_f32 v18, v19, v21, 1.0
	v_mul_f32_e32 v8, v18, v8
	v_mul_f32_e32 v9, v9, v18
	global_load_dwordx2 v[18:19], v[14:15], off
	global_load_dwordx2 v[20:21], v[16:17], off
                                        ; kill: killed $vgpr16 killed $vgpr17
                                        ; kill: killed $vgpr14 killed $vgpr15
	s_nop 0
	global_load_dwordx2 v[12:13], v[12:13], off
	s_load_dwordx2 s[12:13], s[4:5], 0x40
	s_load_dwordx4 s[0:3], s[4:5], 0x30
	s_mov_b32 s6, 0
	s_waitcnt vmcnt(2)
	v_sub_f32_e32 v14, v18, v22
	s_waitcnt vmcnt(1)
	v_mul_f32_e64 v16, v9, -v21
	v_mul_f32_e32 v17, v9, v20
	v_fmac_f32_e32 v16, v20, v8
	v_sub_f32_e32 v15, v19, v23
	v_fmac_f32_e32 v17, v21, v8
	s_waitcnt lgkmcnt(0)
	v_mov_b32_e32 v18, s3
	v_sub_f32_e32 v14, v14, v16
	v_add_co_u32_e32 v16, vcc, s2, v2
	v_sub_f32_e32 v15, v15, v17
	v_addc_co_u32_e32 v17, vcc, v18, v3, vcc
	v_mov_b32_e32 v19, s1
	global_store_dwordx2 v[16:17], v[14:15], off
	v_add_co_u32_e32 v14, vcc, s0, v2
	v_addc_co_u32_e32 v15, vcc, v19, v3, vcc
	global_store_dwordx2 v[14:15], v[10:11], off
	s_waitcnt vmcnt(2)
	v_mul_f32_e32 v10, v9, v13
	v_mul_f32_e64 v11, v9, -v12
	v_fma_f32 v10, -v12, v8, v10
	v_fma_f32 v11, -v13, v8, v11
	v_mov_b32_e32 v13, s13
	v_add_co_u32_e32 v12, vcc, s12, v2
	v_addc_co_u32_e32 v13, vcc, v13, v3, vcc
	global_store_dwordx2 v[12:13], v[10:11], off
	s_cbranch_scc1 .LBB73_4
; %bb.2:
	s_load_dwordx2 s[0:1], s[4:5], 0x48
	s_load_dwordx2 s[12:13], s[4:5], 0x28
	s_waitcnt lgkmcnt(0)
	v_mov_b32_e32 v11, s1
	v_add_co_u32_e32 v10, vcc, s0, v2
	s_ashr_i32 s1, s11, 31
	s_mov_b32 s0, s11
	v_addc_co_u32_e32 v11, vcc, v11, v3, vcc
	s_lshl_b64 s[4:5], s[0:1], 3
.LBB73_3:                               ; =>This Inner Loop Header: Depth=1
	v_mov_b32_e32 v15, s13
	v_add_co_u32_e32 v12, vcc, s12, v0
	v_add_co_u32_e64 v14, s[0:1], s12, v2
	v_add_co_u32_e64 v16, s[2:3], s12, v4
	v_addc_co_u32_e32 v13, vcc, v15, v1, vcc
	v_addc_co_u32_e64 v17, s[2:3], v15, v5, s[2:3]
	v_addc_co_u32_e64 v15, vcc, v15, v3, s[0:1]
	global_load_dwordx2 v[18:19], v[12:13], off
	global_load_dwordx2 v[20:21], v[16:17], off
	;; [unrolled: 1-line block ×3, first 2 shown]
	s_ashr_i32 s7, s6, 31
	s_lshl_b64 s[0:1], s[6:7], 3
	s_add_i32 s10, s10, -1
	s_add_i32 s6, s6, s9
	s_add_u32 s12, s12, s4
	v_mov_b32_e32 v13, s1
	v_add_co_u32_e32 v12, vcc, s0, v10
	s_addc_u32 s13, s13, s5
	v_addc_co_u32_e32 v13, vcc, v11, v13, vcc
	s_cmp_lg_u32 s10, 0
	s_waitcnt vmcnt(2)
	v_mul_f32_e64 v14, v7, -v19
	v_mul_f32_e32 v15, v7, v18
	v_fmac_f32_e32 v14, v18, v6
	v_fmac_f32_e32 v15, v19, v6
	s_waitcnt vmcnt(1)
	v_mul_f32_e64 v16, v9, -v21
	v_mul_f32_e32 v17, v9, v20
	v_fmac_f32_e32 v16, v20, v8
	v_fmac_f32_e32 v17, v21, v8
	s_waitcnt vmcnt(0)
	v_sub_f32_e32 v14, v22, v14
	v_sub_f32_e32 v15, v23, v15
	;; [unrolled: 1-line block ×4, first 2 shown]
	global_store_dwordx2 v[12:13], v[14:15], off
	s_cbranch_scc1 .LBB73_3
.LBB73_4:
	s_endpgm
	.section	.rodata,"a",@progbits
	.p2align	6, 0x0
	.amdhsa_kernel _ZN9rocsparseL30gtsv_nopivot_pcr_stage1_kernelILj256E21rocsparse_complex_numIfEEEviiiiPKT0_S5_S5_S5_PS3_S6_S6_S6_
		.amdhsa_group_segment_fixed_size 0
		.amdhsa_private_segment_fixed_size 0
		.amdhsa_kernarg_size 80
		.amdhsa_user_sgpr_count 6
		.amdhsa_user_sgpr_private_segment_buffer 1
		.amdhsa_user_sgpr_dispatch_ptr 0
		.amdhsa_user_sgpr_queue_ptr 0
		.amdhsa_user_sgpr_kernarg_segment_ptr 1
		.amdhsa_user_sgpr_dispatch_id 0
		.amdhsa_user_sgpr_flat_scratch_init 0
		.amdhsa_user_sgpr_private_segment_size 0
		.amdhsa_uses_dynamic_stack 0
		.amdhsa_system_sgpr_private_segment_wavefront_offset 0
		.amdhsa_system_sgpr_workgroup_id_x 1
		.amdhsa_system_sgpr_workgroup_id_y 0
		.amdhsa_system_sgpr_workgroup_id_z 0
		.amdhsa_system_sgpr_workgroup_info 0
		.amdhsa_system_vgpr_workitem_id 0
		.amdhsa_next_free_vgpr 24
		.amdhsa_next_free_sgpr 14
		.amdhsa_reserve_vcc 1
		.amdhsa_reserve_flat_scratch 0
		.amdhsa_float_round_mode_32 0
		.amdhsa_float_round_mode_16_64 0
		.amdhsa_float_denorm_mode_32 3
		.amdhsa_float_denorm_mode_16_64 3
		.amdhsa_dx10_clamp 1
		.amdhsa_ieee_mode 1
		.amdhsa_fp16_overflow 0
		.amdhsa_exception_fp_ieee_invalid_op 0
		.amdhsa_exception_fp_denorm_src 0
		.amdhsa_exception_fp_ieee_div_zero 0
		.amdhsa_exception_fp_ieee_overflow 0
		.amdhsa_exception_fp_ieee_underflow 0
		.amdhsa_exception_fp_ieee_inexact 0
		.amdhsa_exception_int_div_zero 0
	.end_amdhsa_kernel
	.section	.text._ZN9rocsparseL30gtsv_nopivot_pcr_stage1_kernelILj256E21rocsparse_complex_numIfEEEviiiiPKT0_S5_S5_S5_PS3_S6_S6_S6_,"axG",@progbits,_ZN9rocsparseL30gtsv_nopivot_pcr_stage1_kernelILj256E21rocsparse_complex_numIfEEEviiiiPKT0_S5_S5_S5_PS3_S6_S6_S6_,comdat
.Lfunc_end73:
	.size	_ZN9rocsparseL30gtsv_nopivot_pcr_stage1_kernelILj256E21rocsparse_complex_numIfEEEviiiiPKT0_S5_S5_S5_PS3_S6_S6_S6_, .Lfunc_end73-_ZN9rocsparseL30gtsv_nopivot_pcr_stage1_kernelILj256E21rocsparse_complex_numIfEEEviiiiPKT0_S5_S5_S5_PS3_S6_S6_S6_
                                        ; -- End function
	.set _ZN9rocsparseL30gtsv_nopivot_pcr_stage1_kernelILj256E21rocsparse_complex_numIfEEEviiiiPKT0_S5_S5_S5_PS3_S6_S6_S6_.num_vgpr, 24
	.set _ZN9rocsparseL30gtsv_nopivot_pcr_stage1_kernelILj256E21rocsparse_complex_numIfEEEviiiiPKT0_S5_S5_S5_PS3_S6_S6_S6_.num_agpr, 0
	.set _ZN9rocsparseL30gtsv_nopivot_pcr_stage1_kernelILj256E21rocsparse_complex_numIfEEEviiiiPKT0_S5_S5_S5_PS3_S6_S6_S6_.numbered_sgpr, 14
	.set _ZN9rocsparseL30gtsv_nopivot_pcr_stage1_kernelILj256E21rocsparse_complex_numIfEEEviiiiPKT0_S5_S5_S5_PS3_S6_S6_S6_.num_named_barrier, 0
	.set _ZN9rocsparseL30gtsv_nopivot_pcr_stage1_kernelILj256E21rocsparse_complex_numIfEEEviiiiPKT0_S5_S5_S5_PS3_S6_S6_S6_.private_seg_size, 0
	.set _ZN9rocsparseL30gtsv_nopivot_pcr_stage1_kernelILj256E21rocsparse_complex_numIfEEEviiiiPKT0_S5_S5_S5_PS3_S6_S6_S6_.uses_vcc, 1
	.set _ZN9rocsparseL30gtsv_nopivot_pcr_stage1_kernelILj256E21rocsparse_complex_numIfEEEviiiiPKT0_S5_S5_S5_PS3_S6_S6_S6_.uses_flat_scratch, 0
	.set _ZN9rocsparseL30gtsv_nopivot_pcr_stage1_kernelILj256E21rocsparse_complex_numIfEEEviiiiPKT0_S5_S5_S5_PS3_S6_S6_S6_.has_dyn_sized_stack, 0
	.set _ZN9rocsparseL30gtsv_nopivot_pcr_stage1_kernelILj256E21rocsparse_complex_numIfEEEviiiiPKT0_S5_S5_S5_PS3_S6_S6_S6_.has_recursion, 0
	.set _ZN9rocsparseL30gtsv_nopivot_pcr_stage1_kernelILj256E21rocsparse_complex_numIfEEEviiiiPKT0_S5_S5_S5_PS3_S6_S6_S6_.has_indirect_call, 0
	.section	.AMDGPU.csdata,"",@progbits
; Kernel info:
; codeLenInByte = 984
; TotalNumSgprs: 18
; NumVgprs: 24
; ScratchSize: 0
; MemoryBound: 0
; FloatMode: 240
; IeeeMode: 1
; LDSByteSize: 0 bytes/workgroup (compile time only)
; SGPRBlocks: 2
; VGPRBlocks: 5
; NumSGPRsForWavesPerEU: 18
; NumVGPRsForWavesPerEU: 24
; Occupancy: 10
; WaveLimiterHint : 0
; COMPUTE_PGM_RSRC2:SCRATCH_EN: 0
; COMPUTE_PGM_RSRC2:USER_SGPR: 6
; COMPUTE_PGM_RSRC2:TRAP_HANDLER: 0
; COMPUTE_PGM_RSRC2:TGID_X_EN: 1
; COMPUTE_PGM_RSRC2:TGID_Y_EN: 0
; COMPUTE_PGM_RSRC2:TGID_Z_EN: 0
; COMPUTE_PGM_RSRC2:TIDIG_COMP_CNT: 0
	.section	.text._ZN9rocsparseL33gtsv_nopivot_thomas_stage2_kernelILj256E21rocsparse_complex_numIfEEEviiiiPKT0_S5_S5_S5_PS3_S6_S6_S6_S6_,"axG",@progbits,_ZN9rocsparseL33gtsv_nopivot_thomas_stage2_kernelILj256E21rocsparse_complex_numIfEEEviiiiPKT0_S5_S5_S5_PS3_S6_S6_S6_S6_,comdat
	.globl	_ZN9rocsparseL33gtsv_nopivot_thomas_stage2_kernelILj256E21rocsparse_complex_numIfEEEviiiiPKT0_S5_S5_S5_PS3_S6_S6_S6_S6_ ; -- Begin function _ZN9rocsparseL33gtsv_nopivot_thomas_stage2_kernelILj256E21rocsparse_complex_numIfEEEviiiiPKT0_S5_S5_S5_PS3_S6_S6_S6_S6_
	.p2align	8
	.type	_ZN9rocsparseL33gtsv_nopivot_thomas_stage2_kernelILj256E21rocsparse_complex_numIfEEEviiiiPKT0_S5_S5_S5_PS3_S6_S6_S6_S6_,@function
_ZN9rocsparseL33gtsv_nopivot_thomas_stage2_kernelILj256E21rocsparse_complex_numIfEEEviiiiPKT0_S5_S5_S5_PS3_S6_S6_S6_S6_: ; @_ZN9rocsparseL33gtsv_nopivot_thomas_stage2_kernelILj256E21rocsparse_complex_numIfEEEviiiiPKT0_S5_S5_S5_PS3_S6_S6_S6_S6_
; %bb.0:
	s_load_dwordx2 s[8:9], s[4:5], 0x0
	s_lshl_b32 s6, s6, 8
	v_or_b32_e32 v1, s6, v0
	s_waitcnt lgkmcnt(0)
	v_cmp_gt_i32_e32 vcc, s8, v1
	s_and_saveexec_b64 s[0:1], vcc
	s_cbranch_execz .LBB74_7
; %bb.1:
	s_load_dwordx4 s[0:3], s[4:5], 0x18
	s_load_dwordx2 s[10:11], s[4:5], 0x28
	v_ashrrev_i32_e32 v2, 31, v1
	v_lshlrev_b64 v[2:3], 3, v[1:2]
	s_mul_i32 s24, s9, s7
	s_waitcnt lgkmcnt(0)
	v_mov_b32_e32 v5, s1
	v_add_co_u32_e32 v4, vcc, s0, v2
	v_addc_co_u32_e32 v5, vcc, v5, v3, vcc
	global_load_dwordx2 v[13:14], v[4:5], off
	v_mov_b32_e32 v7, 0
	v_add_u32_e32 v6, s24, v1
	v_lshlrev_b64 v[11:12], 3, v[6:7]
	v_mov_b32_e32 v6, s3
	v_add_co_u32_e32 v8, vcc, s2, v2
	v_addc_co_u32_e32 v9, vcc, v6, v3, vcc
	v_mov_b32_e32 v10, s11
	v_add_co_u32_e32 v17, vcc, s10, v11
	global_load_dwordx2 v[15:16], v[8:9], off
	v_addc_co_u32_e32 v18, vcc, v10, v12, vcc
	global_load_dwordx2 v[17:18], v[17:18], off
	s_abs_i32 s16, s8
	v_cvt_f32_u32_e32 v6, s16
	v_xad_u32 v10, v1, -1, s9
	s_sub_i32 s9, 0, s16
	v_sub_u32_e32 v19, 0, v10
	v_rcp_iflag_f32_e32 v6, v6
	v_xor_b32_e32 v20, s8, v10
	v_max_i32_e32 v22, v10, v19
	v_ashrrev_i32_e32 v10, 31, v20
	v_mul_f32_e32 v6, 0x4f7ffffe, v6
	v_cvt_u32_f32_e32 v6, v6
	s_load_dwordx4 s[0:3], s[4:5], 0x40
	s_load_dwordx2 s[12:13], s[4:5], 0x50
	s_mov_b32 s20, 0
	v_mul_lo_u32 v21, s9, v6
	s_waitcnt lgkmcnt(0)
	v_mov_b32_e32 v19, s1
	v_add_co_u32_e64 v2, s[0:1], s0, v2
	v_mul_hi_u32 v20, v6, v21
	v_addc_co_u32_e64 v3, s[0:1], v19, v3, s[0:1]
	v_mov_b32_e32 v24, s3
	v_add_u32_e32 v6, v6, v20
	v_mul_hi_u32 v6, v22, v6
	v_add_co_u32_e64 v19, s[0:1], s2, v11
	v_addc_co_u32_e64 v20, s[0:1], v24, v12, s[0:1]
	v_mul_lo_u32 v26, v6, s16
	v_add_u32_e32 v11, 1, v6
	v_sub_u32_e32 v22, v22, v26
	v_cmp_le_u32_e64 s[0:1], s16, v22
	v_cndmask_b32_e64 v6, v6, v11, s[0:1]
	s_waitcnt vmcnt(2)
	v_mul_f32_e32 v21, v14, v14
	v_fmac_f32_e32 v21, v13, v13
	v_div_scale_f32 v23, s[14:15], v21, v21, 1.0
	v_div_scale_f32 v25, vcc, 1.0, v21, 1.0
	v_rcp_f32_e32 v12, v23
	v_fma_f32 v11, -v23, v12, 1.0
	v_fmac_f32_e32 v12, v11, v12
	v_mul_f32_e32 v11, v25, v12
	v_fma_f32 v24, -v23, v11, v25
	v_fmac_f32_e32 v11, v24, v12
	v_fma_f32 v23, -v23, v11, v25
	v_div_fmas_f32 v23, v23, v12, v11
	v_subrev_u32_e32 v11, s16, v22
	v_cndmask_b32_e64 v11, v22, v11, s[0:1]
	v_add_u32_e32 v12, 1, v6
	v_cmp_le_u32_e32 vcc, s16, v11
	v_cndmask_b32_e32 v6, v6, v12, vcc
	v_xor_b32_e32 v11, v6, v10
	s_waitcnt vmcnt(1)
	v_mul_f32_e32 v6, v14, v16
	v_mul_f32_e64 v22, v14, -v15
	v_sub_u32_e32 v12, v11, v10
	s_waitcnt vmcnt(0)
	v_mul_f32_e32 v24, v14, v18
	v_mul_f32_e64 v25, v14, -v17
	v_fmac_f32_e32 v6, v15, v13
	v_fmac_f32_e32 v22, v16, v13
	;; [unrolled: 1-line block ×4, first 2 shown]
	v_div_fixup_f32 v16, v23, v21, 1.0
	v_mul_f32_e32 v13, v16, v6
	v_mul_f32_e32 v14, v22, v16
	v_cmp_lt_i32_e32 vcc, 0, v12
	v_mul_f32_e32 v15, v16, v24
	v_mul_f32_e32 v16, v16, v25
	global_store_dwordx2 v[2:3], v[13:14], off
	global_store_dwordx2 v[19:20], v[15:16], off
	s_and_saveexec_b64 s[14:15], vcc
	s_cbranch_execz .LBB74_4
; %bb.2:
	s_load_dwordx2 s[16:17], s[4:5], 0x10
	s_add_i32 s0, s6, s24
	v_add_u32_e32 v13, s0, v0
	s_mov_b64 s[18:19], 0
	v_mov_b32_e32 v14, v12
.LBB74_3:                               ; =>This Inner Loop Header: Depth=1
	v_add_u32_e32 v6, s8, v1
	v_add_u32_e32 v16, s8, v13
	;; [unrolled: 1-line block ×4, first 2 shown]
	v_ashrrev_i32_e32 v16, 31, v15
	s_ashr_i32 s21, s20, 31
	v_lshlrev_b64 v[15:16], 3, v[15:16]
	s_lshl_b64 s[0:1], s[20:21], 3
	v_lshlrev_b64 v[17:18], 3, v[6:7]
	v_add_u32_e32 v6, s20, v13
	s_waitcnt lgkmcnt(0)
	v_mov_b32_e32 v20, s17
	v_mov_b32_e32 v23, s1
	v_add_co_u32_e32 v19, vcc, s0, v2
	v_add_co_u32_e64 v15, s[0:1], s16, v15
	v_lshlrev_b64 v[21:22], 3, v[6:7]
	v_addc_co_u32_e64 v16, s[0:1], v20, v16, s[0:1]
	v_addc_co_u32_e32 v20, vcc, v3, v23, vcc
	v_mov_b32_e32 v27, s3
	v_add_co_u32_e32 v21, vcc, s2, v21
	global_load_dwordx2 v[19:20], v[19:20], off
	v_addc_co_u32_e32 v22, vcc, v27, v22, vcc
	global_load_dwordx2 v[23:24], v[15:16], off
	global_load_dwordx2 v[25:26], v[21:22], off
	v_mov_b32_e32 v28, s11
	v_add_co_u32_e32 v15, vcc, s10, v17
	s_add_i32 s22, s8, s20
	v_addc_co_u32_e32 v16, vcc, v28, v18, vcc
	s_ashr_i32 s23, s22, 31
	v_add_co_u32_e32 v17, vcc, s2, v17
	s_lshl_b64 s[20:21], s[22:23], 3
	v_addc_co_u32_e32 v18, vcc, v27, v18, vcc
	v_add_u32_e32 v14, -1, v14
	s_waitcnt vmcnt(1)
	v_mul_f32_e64 v6, v24, -v20
	v_mul_f32_e32 v21, v24, v19
	s_waitcnt vmcnt(0)
	v_mul_f32_e64 v22, v24, -v26
	v_mul_f32_e32 v24, v24, v25
	v_fmac_f32_e32 v6, v19, v23
	v_fmac_f32_e32 v21, v20, v23
	;; [unrolled: 1-line block ×4, first 2 shown]
	v_mov_b32_e32 v23, s21
	v_add_co_u32_e32 v19, vcc, s20, v4
	v_addc_co_u32_e32 v20, vcc, v5, v23, vcc
	global_load_dwordx2 v[19:20], v[19:20], off
	s_nop 0
	global_load_dwordx2 v[15:16], v[15:16], off
	s_waitcnt vmcnt(1)
	v_sub_f32_e32 v21, v20, v21
	v_sub_f32_e32 v6, v19, v6
	s_waitcnt vmcnt(0)
	v_sub_f32_e32 v25, v15, v22
	v_mul_f32_e32 v22, v21, v21
	v_fmac_f32_e32 v22, v6, v6
	v_div_scale_f32 v15, s[0:1], v22, v22, 1.0
	v_sub_f32_e32 v24, v16, v24
	v_div_scale_f32 v16, vcc, 1.0, v22, 1.0
	v_rcp_f32_e32 v19, v15
	v_fma_f32 v20, -v15, v19, 1.0
	v_fmac_f32_e32 v19, v20, v19
	v_mul_f32_e32 v20, v16, v19
	v_fma_f32 v26, -v15, v20, v16
	v_fmac_f32_e32 v20, v26, v19
	v_fma_f32 v15, -v15, v20, v16
	v_div_fmas_f32 v26, v15, v19, v20
	v_add_co_u32_e32 v15, vcc, s20, v8
	v_addc_co_u32_e32 v16, vcc, v9, v23, vcc
	global_load_dwordx2 v[15:16], v[15:16], off
	v_add_co_u32_e32 v19, vcc, s20, v2
	v_addc_co_u32_e32 v20, vcc, v3, v23, vcc
	v_fma_f32 v23, 0, v21, v6
	v_fma_f32 v6, v6, 0, -v21
	v_cmp_eq_u32_e32 vcc, 0, v14
	s_mov_b32 s20, s22
	s_or_b64 s[18:19], vcc, s[18:19]
	v_div_fixup_f32 v21, v26, v22, 1.0
	v_mul_f32_e32 v6, v6, v21
	v_mul_f32_e32 v23, v23, v21
	s_waitcnt vmcnt(0)
	v_mul_f32_e64 v21, v6, -v16
	v_mul_f32_e32 v22, v6, v15
	v_fmac_f32_e32 v21, v15, v23
	v_fmac_f32_e32 v22, v16, v23
	v_mul_f32_e64 v15, v6, -v24
	v_mul_f32_e32 v16, v6, v25
	v_fmac_f32_e32 v15, v25, v23
	v_fmac_f32_e32 v16, v24, v23
	global_store_dwordx2 v[19:20], v[21:22], off
	global_store_dwordx2 v[17:18], v[15:16], off
	s_andn2_b64 exec, exec, s[18:19]
	s_cbranch_execnz .LBB74_3
.LBB74_4:
	s_or_b64 exec, exec, s[14:15]
	v_mul_lo_u32 v8, v12, s8
	v_mov_b32_e32 v5, 0
	v_mov_b32_e32 v9, s3
	s_load_dword s0, s[4:5], 0xc
	v_add_u32_e32 v1, v8, v1
	v_add_u32_e32 v4, s24, v1
	v_lshlrev_b64 v[6:7], 3, v[4:5]
	s_waitcnt lgkmcnt(0)
	s_mul_i32 s0, s0, s7
	v_add_co_u32_e32 v6, vcc, s2, v6
	v_addc_co_u32_e32 v7, vcc, v9, v7, vcc
	global_load_dwordx2 v[6:7], v[6:7], off
	v_add_u32_e32 v4, s0, v1
	v_lshlrev_b64 v[13:14], 3, v[4:5]
	v_mov_b32_e32 v9, s13
	v_add_co_u32_e32 v13, vcc, s12, v13
	v_addc_co_u32_e32 v14, vcc, v9, v14, vcc
	v_cmp_lt_i32_e32 vcc, 0, v12
	s_waitcnt vmcnt(0)
	global_store_dwordx2 v[13:14], v[6:7], off
	s_and_b64 exec, exec, vcc
	s_cbranch_execz .LBB74_7
; %bb.5:
	v_xad_u32 v4, v10, -1, v11
	v_mul_lo_u32 v6, s8, v4
	v_sub_u32_e32 v1, v11, v10
	s_add_i32 s1, s6, s24
	s_add_i32 s6, s6, s0
	v_add_u32_e32 v1, 1, v1
	v_add_u32_e32 v9, s1, v0
	;; [unrolled: 1-line block ×3, first 2 shown]
	s_mov_b64 s[0:1], 0
	v_mov_b32_e32 v10, s3
	v_mov_b32_e32 v11, s13
.LBB74_6:                               ; =>This Inner Loop Header: Depth=1
	v_add_u32_e32 v4, v9, v6
	v_lshlrev_b64 v[12:13], 3, v[4:5]
	v_ashrrev_i32_e32 v7, 31, v6
	v_lshlrev_b64 v[14:15], 3, v[6:7]
	v_add_co_u32_e32 v12, vcc, s2, v12
	v_add_u32_e32 v4, v0, v8
	v_addc_co_u32_e32 v13, vcc, v10, v13, vcc
	v_lshlrev_b64 v[16:17], 3, v[4:5]
	v_add_co_u32_e32 v14, vcc, v2, v14
	v_addc_co_u32_e32 v15, vcc, v3, v15, vcc
	v_add_co_u32_e32 v16, vcc, s12, v16
	v_addc_co_u32_e32 v17, vcc, v11, v17, vcc
	global_load_dwordx2 v[18:19], v[14:15], off
	global_load_dwordx2 v[20:21], v[16:17], off
	;; [unrolled: 1-line block ×3, first 2 shown]
	v_add_u32_e32 v4, v0, v6
	v_add_u32_e32 v1, -1, v1
	v_lshlrev_b64 v[12:13], 3, v[4:5]
	v_cmp_gt_u32_e32 vcc, 2, v1
	s_or_b64 s[0:1], vcc, s[0:1]
	v_add_co_u32_e32 v12, vcc, s12, v12
	v_subrev_u32_e32 v8, s8, v8
	v_subrev_u32_e32 v6, s8, v6
	v_addc_co_u32_e32 v13, vcc, v11, v13, vcc
	s_waitcnt vmcnt(1)
	v_mul_f32_e64 v4, v21, -v19
	v_mul_f32_e32 v7, v21, v18
	v_fmac_f32_e32 v4, v18, v20
	v_fmac_f32_e32 v7, v19, v20
	s_waitcnt vmcnt(0)
	v_sub_f32_e32 v14, v22, v4
	v_sub_f32_e32 v15, v23, v7
	global_store_dwordx2 v[12:13], v[14:15], off
	s_andn2_b64 exec, exec, s[0:1]
	s_cbranch_execnz .LBB74_6
.LBB74_7:
	s_endpgm
	.section	.rodata,"a",@progbits
	.p2align	6, 0x0
	.amdhsa_kernel _ZN9rocsparseL33gtsv_nopivot_thomas_stage2_kernelILj256E21rocsparse_complex_numIfEEEviiiiPKT0_S5_S5_S5_PS3_S6_S6_S6_S6_
		.amdhsa_group_segment_fixed_size 0
		.amdhsa_private_segment_fixed_size 0
		.amdhsa_kernarg_size 88
		.amdhsa_user_sgpr_count 6
		.amdhsa_user_sgpr_private_segment_buffer 1
		.amdhsa_user_sgpr_dispatch_ptr 0
		.amdhsa_user_sgpr_queue_ptr 0
		.amdhsa_user_sgpr_kernarg_segment_ptr 1
		.amdhsa_user_sgpr_dispatch_id 0
		.amdhsa_user_sgpr_flat_scratch_init 0
		.amdhsa_user_sgpr_private_segment_size 0
		.amdhsa_uses_dynamic_stack 0
		.amdhsa_system_sgpr_private_segment_wavefront_offset 0
		.amdhsa_system_sgpr_workgroup_id_x 1
		.amdhsa_system_sgpr_workgroup_id_y 1
		.amdhsa_system_sgpr_workgroup_id_z 0
		.amdhsa_system_sgpr_workgroup_info 0
		.amdhsa_system_vgpr_workitem_id 0
		.amdhsa_next_free_vgpr 29
		.amdhsa_next_free_sgpr 25
		.amdhsa_reserve_vcc 1
		.amdhsa_reserve_flat_scratch 0
		.amdhsa_float_round_mode_32 0
		.amdhsa_float_round_mode_16_64 0
		.amdhsa_float_denorm_mode_32 3
		.amdhsa_float_denorm_mode_16_64 3
		.amdhsa_dx10_clamp 1
		.amdhsa_ieee_mode 1
		.amdhsa_fp16_overflow 0
		.amdhsa_exception_fp_ieee_invalid_op 0
		.amdhsa_exception_fp_denorm_src 0
		.amdhsa_exception_fp_ieee_div_zero 0
		.amdhsa_exception_fp_ieee_overflow 0
		.amdhsa_exception_fp_ieee_underflow 0
		.amdhsa_exception_fp_ieee_inexact 0
		.amdhsa_exception_int_div_zero 0
	.end_amdhsa_kernel
	.section	.text._ZN9rocsparseL33gtsv_nopivot_thomas_stage2_kernelILj256E21rocsparse_complex_numIfEEEviiiiPKT0_S5_S5_S5_PS3_S6_S6_S6_S6_,"axG",@progbits,_ZN9rocsparseL33gtsv_nopivot_thomas_stage2_kernelILj256E21rocsparse_complex_numIfEEEviiiiPKT0_S5_S5_S5_PS3_S6_S6_S6_S6_,comdat
.Lfunc_end74:
	.size	_ZN9rocsparseL33gtsv_nopivot_thomas_stage2_kernelILj256E21rocsparse_complex_numIfEEEviiiiPKT0_S5_S5_S5_PS3_S6_S6_S6_S6_, .Lfunc_end74-_ZN9rocsparseL33gtsv_nopivot_thomas_stage2_kernelILj256E21rocsparse_complex_numIfEEEviiiiPKT0_S5_S5_S5_PS3_S6_S6_S6_S6_
                                        ; -- End function
	.set _ZN9rocsparseL33gtsv_nopivot_thomas_stage2_kernelILj256E21rocsparse_complex_numIfEEEviiiiPKT0_S5_S5_S5_PS3_S6_S6_S6_S6_.num_vgpr, 29
	.set _ZN9rocsparseL33gtsv_nopivot_thomas_stage2_kernelILj256E21rocsparse_complex_numIfEEEviiiiPKT0_S5_S5_S5_PS3_S6_S6_S6_S6_.num_agpr, 0
	.set _ZN9rocsparseL33gtsv_nopivot_thomas_stage2_kernelILj256E21rocsparse_complex_numIfEEEviiiiPKT0_S5_S5_S5_PS3_S6_S6_S6_S6_.numbered_sgpr, 25
	.set _ZN9rocsparseL33gtsv_nopivot_thomas_stage2_kernelILj256E21rocsparse_complex_numIfEEEviiiiPKT0_S5_S5_S5_PS3_S6_S6_S6_S6_.num_named_barrier, 0
	.set _ZN9rocsparseL33gtsv_nopivot_thomas_stage2_kernelILj256E21rocsparse_complex_numIfEEEviiiiPKT0_S5_S5_S5_PS3_S6_S6_S6_S6_.private_seg_size, 0
	.set _ZN9rocsparseL33gtsv_nopivot_thomas_stage2_kernelILj256E21rocsparse_complex_numIfEEEviiiiPKT0_S5_S5_S5_PS3_S6_S6_S6_S6_.uses_vcc, 1
	.set _ZN9rocsparseL33gtsv_nopivot_thomas_stage2_kernelILj256E21rocsparse_complex_numIfEEEviiiiPKT0_S5_S5_S5_PS3_S6_S6_S6_S6_.uses_flat_scratch, 0
	.set _ZN9rocsparseL33gtsv_nopivot_thomas_stage2_kernelILj256E21rocsparse_complex_numIfEEEviiiiPKT0_S5_S5_S5_PS3_S6_S6_S6_S6_.has_dyn_sized_stack, 0
	.set _ZN9rocsparseL33gtsv_nopivot_thomas_stage2_kernelILj256E21rocsparse_complex_numIfEEEviiiiPKT0_S5_S5_S5_PS3_S6_S6_S6_S6_.has_recursion, 0
	.set _ZN9rocsparseL33gtsv_nopivot_thomas_stage2_kernelILj256E21rocsparse_complex_numIfEEEviiiiPKT0_S5_S5_S5_PS3_S6_S6_S6_S6_.has_indirect_call, 0
	.section	.AMDGPU.csdata,"",@progbits
; Kernel info:
; codeLenInByte = 1376
; TotalNumSgprs: 29
; NumVgprs: 29
; ScratchSize: 0
; MemoryBound: 0
; FloatMode: 240
; IeeeMode: 1
; LDSByteSize: 0 bytes/workgroup (compile time only)
; SGPRBlocks: 3
; VGPRBlocks: 7
; NumSGPRsForWavesPerEU: 29
; NumVGPRsForWavesPerEU: 29
; Occupancy: 8
; WaveLimiterHint : 0
; COMPUTE_PGM_RSRC2:SCRATCH_EN: 0
; COMPUTE_PGM_RSRC2:USER_SGPR: 6
; COMPUTE_PGM_RSRC2:TRAP_HANDLER: 0
; COMPUTE_PGM_RSRC2:TGID_X_EN: 1
; COMPUTE_PGM_RSRC2:TGID_Y_EN: 1
; COMPUTE_PGM_RSRC2:TGID_Z_EN: 0
; COMPUTE_PGM_RSRC2:TIDIG_COMP_CNT: 0
	.section	.text._ZN9rocsparseL35gtsv_nopivot_pcr_pow2_shared_kernelILj2E21rocsparse_complex_numIdEEEviiiPKT0_S5_S5_PS3_,"axG",@progbits,_ZN9rocsparseL35gtsv_nopivot_pcr_pow2_shared_kernelILj2E21rocsparse_complex_numIdEEEviiiPKT0_S5_S5_PS3_,comdat
	.globl	_ZN9rocsparseL35gtsv_nopivot_pcr_pow2_shared_kernelILj2E21rocsparse_complex_numIdEEEviiiPKT0_S5_S5_PS3_ ; -- Begin function _ZN9rocsparseL35gtsv_nopivot_pcr_pow2_shared_kernelILj2E21rocsparse_complex_numIdEEEviiiPKT0_S5_S5_PS3_
	.p2align	8
	.type	_ZN9rocsparseL35gtsv_nopivot_pcr_pow2_shared_kernelILj2E21rocsparse_complex_numIdEEEviiiPKT0_S5_S5_PS3_,@function
_ZN9rocsparseL35gtsv_nopivot_pcr_pow2_shared_kernelILj2E21rocsparse_complex_numIdEEEviiiPKT0_S5_S5_PS3_: ; @_ZN9rocsparseL35gtsv_nopivot_pcr_pow2_shared_kernelILj2E21rocsparse_complex_numIdEEEviiiPKT0_S5_S5_PS3_
; %bb.0:
	s_load_dwordx8 s[8:15], s[4:5], 0x10
	s_load_dword s0, s[4:5], 0x8
	v_mov_b32_e32 v2, 0
	v_lshlrev_b32_e32 v5, 4, v0
	s_waitcnt lgkmcnt(0)
	global_load_dwordx4 v[6:9], v5, s[8:9]
	global_load_dwordx4 v[10:13], v5, s[10:11]
	s_mul_i32 s0, s0, s6
	v_add_u32_e32 v1, s0, v0
	v_lshlrev_b64 v[3:4], 4, v[1:2]
	v_mov_b32_e32 v14, s15
	v_add_co_u32_e32 v3, vcc, s14, v3
	v_addc_co_u32_e32 v4, vcc, v14, v4, vcc
	global_load_dwordx4 v[14:17], v5, s[12:13]
	global_load_dwordx4 v[18:21], v[3:4], off
	v_cmp_eq_u32_e32 vcc, 0, v0
	s_waitcnt vmcnt(3)
	ds_write2_b64 v5, v[6:7], v[8:9] offset1:1
	s_waitcnt vmcnt(2)
	ds_write2_b64 v5, v[10:11], v[12:13] offset0:6 offset1:7
	s_waitcnt vmcnt(1)
	ds_write2_b64 v5, v[14:15], v[16:17] offset0:12 offset1:13
	;; [unrolled: 2-line block ×3, first 2 shown]
	s_waitcnt lgkmcnt(0)
	; wave barrier
	s_and_saveexec_b64 s[0:1], vcc
	s_cbranch_execz .LBB75_2
; %bb.1:
	v_add_u32_e32 v0, 48, v5
	ds_read_b128 v[6:9], v0
	ds_read_b128 v[10:13], v2 offset:64
	ds_read_b128 v[14:17], v2 offset:208
	v_or_b32_e32 v0, 0x60, v5
	ds_read_b128 v[18:21], v0
	s_waitcnt lgkmcnt(2)
	v_mul_f64 v[0:1], v[8:9], -v[12:13]
	v_mul_f64 v[22:23], v[8:9], v[10:11]
	s_waitcnt lgkmcnt(1)
	v_mul_f64 v[24:25], v[8:9], -v[16:17]
	v_mul_f64 v[8:9], v[8:9], v[14:15]
	;; [unrolled: 3-line block ×3, first 2 shown]
	v_fma_f64 v[0:1], v[10:11], v[6:7], v[0:1]
	v_fma_f64 v[22:23], v[12:13], v[6:7], v[22:23]
	;; [unrolled: 1-line block ×4, first 2 shown]
	ds_read_b128 v[6:9], v2 offset:16
	v_fma_f64 v[26:27], v[18:19], v[14:15], v[26:27]
	v_fma_f64 v[28:29], v[20:21], v[14:15], v[28:29]
	v_or_b32_e32 v14, 0xc0, v5
	ds_read_b128 v[14:17], v14
	s_waitcnt lgkmcnt(1)
	v_mul_f64 v[32:33], v[8:9], -v[20:21]
	v_fma_f64 v[32:33], v[18:19], v[6:7], v[32:33]
	v_mul_f64 v[18:19], v[8:9], v[18:19]
	v_add_f64 v[0:1], v[0:1], -v[32:33]
	v_fma_f64 v[18:19], v[20:21], v[6:7], v[18:19]
	s_waitcnt lgkmcnt(0)
	v_mul_f64 v[20:21], v[16:17], -v[12:13]
	v_fma_f64 v[20:21], v[10:11], v[14:15], v[20:21]
	v_mul_f64 v[10:11], v[10:11], v[16:17]
	v_fma_f64 v[10:11], v[12:13], v[14:15], v[10:11]
	v_mul_f64 v[12:13], v[8:9], -v[16:17]
	v_mul_f64 v[8:9], v[8:9], v[14:15]
	v_add_f64 v[10:11], v[10:11], -v[28:29]
	v_fma_f64 v[12:13], v[14:15], v[6:7], v[12:13]
	v_fma_f64 v[6:7], v[16:17], v[6:7], v[8:9]
	v_add_f64 v[8:9], v[22:23], -v[18:19]
	v_add_f64 v[12:13], v[24:25], -v[12:13]
	v_mul_f64 v[14:15], v[8:9], v[8:9]
	v_fma_f64 v[14:15], v[0:1], v[0:1], v[14:15]
	v_div_scale_f64 v[16:17], s[2:3], v[14:15], v[14:15], 1.0
	v_rcp_f64_e32 v[18:19], v[16:17]
	v_fma_f64 v[22:23], -v[16:17], v[18:19], 1.0
	v_fma_f64 v[18:19], v[18:19], v[22:23], v[18:19]
	v_fma_f64 v[22:23], -v[16:17], v[18:19], 1.0
	v_fma_f64 v[18:19], v[18:19], v[22:23], v[18:19]
	v_div_scale_f64 v[22:23], vcc, 1.0, v[14:15], 1.0
	v_mul_f64 v[32:33], v[22:23], v[18:19]
	v_fma_f64 v[16:17], -v[16:17], v[32:33], v[22:23]
	s_nop 1
	v_div_fmas_f64 v[16:17], v[16:17], v[18:19], v[32:33]
	v_fma_f64 v[18:19], v[0:1], 0, -v[8:9]
	v_fma_f64 v[0:1], v[8:9], 0, v[0:1]
	v_div_fixup_f64 v[14:15], v[16:17], v[14:15], 1.0
	v_add_f64 v[16:17], v[20:21], -v[26:27]
	v_mul_f64 v[8:9], v[18:19], v[14:15]
	v_add_f64 v[18:19], v[30:31], -v[6:7]
	v_mul_f64 v[0:1], v[0:1], v[14:15]
	v_mul_f64 v[6:7], v[8:9], -v[10:11]
	v_mul_f64 v[14:15], v[8:9], v[16:17]
	v_mul_f64 v[20:21], v[8:9], -v[18:19]
	v_mul_f64 v[22:23], v[8:9], v[12:13]
	v_fma_f64 v[6:7], v[16:17], v[0:1], v[6:7]
	v_fma_f64 v[8:9], v[10:11], v[0:1], v[14:15]
	v_fma_f64 v[10:11], v[12:13], v[0:1], v[20:21]
	v_fma_f64 v[12:13], v[18:19], v[0:1], v[22:23]
	ds_write_b128 v2, v[6:9] offset:144
	ds_write_b128 v2, v[10:13] offset:160
.LBB75_2:
	s_or_b64 exec, exec, s[0:1]
	s_waitcnt lgkmcnt(0)
	; wave barrier
	ds_read2_b64 v[5:8], v5 offset0:18 offset1:19
	s_waitcnt lgkmcnt(0)
	global_store_dwordx4 v[3:4], v[5:8], off
	s_endpgm
	.section	.rodata,"a",@progbits
	.p2align	6, 0x0
	.amdhsa_kernel _ZN9rocsparseL35gtsv_nopivot_pcr_pow2_shared_kernelILj2E21rocsparse_complex_numIdEEEviiiPKT0_S5_S5_PS3_
		.amdhsa_group_segment_fixed_size 240
		.amdhsa_private_segment_fixed_size 0
		.amdhsa_kernarg_size 48
		.amdhsa_user_sgpr_count 6
		.amdhsa_user_sgpr_private_segment_buffer 1
		.amdhsa_user_sgpr_dispatch_ptr 0
		.amdhsa_user_sgpr_queue_ptr 0
		.amdhsa_user_sgpr_kernarg_segment_ptr 1
		.amdhsa_user_sgpr_dispatch_id 0
		.amdhsa_user_sgpr_flat_scratch_init 0
		.amdhsa_user_sgpr_private_segment_size 0
		.amdhsa_uses_dynamic_stack 0
		.amdhsa_system_sgpr_private_segment_wavefront_offset 0
		.amdhsa_system_sgpr_workgroup_id_x 1
		.amdhsa_system_sgpr_workgroup_id_y 0
		.amdhsa_system_sgpr_workgroup_id_z 0
		.amdhsa_system_sgpr_workgroup_info 0
		.amdhsa_system_vgpr_workitem_id 0
		.amdhsa_next_free_vgpr 34
		.amdhsa_next_free_sgpr 16
		.amdhsa_reserve_vcc 1
		.amdhsa_reserve_flat_scratch 0
		.amdhsa_float_round_mode_32 0
		.amdhsa_float_round_mode_16_64 0
		.amdhsa_float_denorm_mode_32 3
		.amdhsa_float_denorm_mode_16_64 3
		.amdhsa_dx10_clamp 1
		.amdhsa_ieee_mode 1
		.amdhsa_fp16_overflow 0
		.amdhsa_exception_fp_ieee_invalid_op 0
		.amdhsa_exception_fp_denorm_src 0
		.amdhsa_exception_fp_ieee_div_zero 0
		.amdhsa_exception_fp_ieee_overflow 0
		.amdhsa_exception_fp_ieee_underflow 0
		.amdhsa_exception_fp_ieee_inexact 0
		.amdhsa_exception_int_div_zero 0
	.end_amdhsa_kernel
	.section	.text._ZN9rocsparseL35gtsv_nopivot_pcr_pow2_shared_kernelILj2E21rocsparse_complex_numIdEEEviiiPKT0_S5_S5_PS3_,"axG",@progbits,_ZN9rocsparseL35gtsv_nopivot_pcr_pow2_shared_kernelILj2E21rocsparse_complex_numIdEEEviiiPKT0_S5_S5_PS3_,comdat
.Lfunc_end75:
	.size	_ZN9rocsparseL35gtsv_nopivot_pcr_pow2_shared_kernelILj2E21rocsparse_complex_numIdEEEviiiPKT0_S5_S5_PS3_, .Lfunc_end75-_ZN9rocsparseL35gtsv_nopivot_pcr_pow2_shared_kernelILj2E21rocsparse_complex_numIdEEEviiiPKT0_S5_S5_PS3_
                                        ; -- End function
	.set _ZN9rocsparseL35gtsv_nopivot_pcr_pow2_shared_kernelILj2E21rocsparse_complex_numIdEEEviiiPKT0_S5_S5_PS3_.num_vgpr, 34
	.set _ZN9rocsparseL35gtsv_nopivot_pcr_pow2_shared_kernelILj2E21rocsparse_complex_numIdEEEviiiPKT0_S5_S5_PS3_.num_agpr, 0
	.set _ZN9rocsparseL35gtsv_nopivot_pcr_pow2_shared_kernelILj2E21rocsparse_complex_numIdEEEviiiPKT0_S5_S5_PS3_.numbered_sgpr, 16
	.set _ZN9rocsparseL35gtsv_nopivot_pcr_pow2_shared_kernelILj2E21rocsparse_complex_numIdEEEviiiPKT0_S5_S5_PS3_.num_named_barrier, 0
	.set _ZN9rocsparseL35gtsv_nopivot_pcr_pow2_shared_kernelILj2E21rocsparse_complex_numIdEEEviiiPKT0_S5_S5_PS3_.private_seg_size, 0
	.set _ZN9rocsparseL35gtsv_nopivot_pcr_pow2_shared_kernelILj2E21rocsparse_complex_numIdEEEviiiPKT0_S5_S5_PS3_.uses_vcc, 1
	.set _ZN9rocsparseL35gtsv_nopivot_pcr_pow2_shared_kernelILj2E21rocsparse_complex_numIdEEEviiiPKT0_S5_S5_PS3_.uses_flat_scratch, 0
	.set _ZN9rocsparseL35gtsv_nopivot_pcr_pow2_shared_kernelILj2E21rocsparse_complex_numIdEEEviiiPKT0_S5_S5_PS3_.has_dyn_sized_stack, 0
	.set _ZN9rocsparseL35gtsv_nopivot_pcr_pow2_shared_kernelILj2E21rocsparse_complex_numIdEEEviiiPKT0_S5_S5_PS3_.has_recursion, 0
	.set _ZN9rocsparseL35gtsv_nopivot_pcr_pow2_shared_kernelILj2E21rocsparse_complex_numIdEEEviiiPKT0_S5_S5_PS3_.has_indirect_call, 0
	.section	.AMDGPU.csdata,"",@progbits
; Kernel info:
; codeLenInByte = 728
; TotalNumSgprs: 20
; NumVgprs: 34
; ScratchSize: 0
; MemoryBound: 0
; FloatMode: 240
; IeeeMode: 1
; LDSByteSize: 240 bytes/workgroup (compile time only)
; SGPRBlocks: 2
; VGPRBlocks: 8
; NumSGPRsForWavesPerEU: 20
; NumVGPRsForWavesPerEU: 34
; Occupancy: 7
; WaveLimiterHint : 0
; COMPUTE_PGM_RSRC2:SCRATCH_EN: 0
; COMPUTE_PGM_RSRC2:USER_SGPR: 6
; COMPUTE_PGM_RSRC2:TRAP_HANDLER: 0
; COMPUTE_PGM_RSRC2:TGID_X_EN: 1
; COMPUTE_PGM_RSRC2:TGID_Y_EN: 0
; COMPUTE_PGM_RSRC2:TGID_Z_EN: 0
; COMPUTE_PGM_RSRC2:TIDIG_COMP_CNT: 0
	.section	.text._ZN9rocsparseL35gtsv_nopivot_pcr_pow2_shared_kernelILj4E21rocsparse_complex_numIdEEEviiiPKT0_S5_S5_PS3_,"axG",@progbits,_ZN9rocsparseL35gtsv_nopivot_pcr_pow2_shared_kernelILj4E21rocsparse_complex_numIdEEEviiiPKT0_S5_S5_PS3_,comdat
	.globl	_ZN9rocsparseL35gtsv_nopivot_pcr_pow2_shared_kernelILj4E21rocsparse_complex_numIdEEEviiiPKT0_S5_S5_PS3_ ; -- Begin function _ZN9rocsparseL35gtsv_nopivot_pcr_pow2_shared_kernelILj4E21rocsparse_complex_numIdEEEviiiPKT0_S5_S5_PS3_
	.p2align	8
	.type	_ZN9rocsparseL35gtsv_nopivot_pcr_pow2_shared_kernelILj4E21rocsparse_complex_numIdEEEviiiPKT0_S5_S5_PS3_,@function
_ZN9rocsparseL35gtsv_nopivot_pcr_pow2_shared_kernelILj4E21rocsparse_complex_numIdEEEviiiPKT0_S5_S5_PS3_: ; @_ZN9rocsparseL35gtsv_nopivot_pcr_pow2_shared_kernelILj4E21rocsparse_complex_numIdEEEviiiPKT0_S5_S5_PS3_
; %bb.0:
	s_load_dword s0, s[4:5], 0x8
	s_load_dwordx8 s[8:15], s[4:5], 0x10
	v_lshlrev_b32_e32 v3, 4, v0
	v_mov_b32_e32 v2, 0
	v_min_u32_e32 v22, 2, v0
	s_waitcnt lgkmcnt(0)
	s_mul_i32 s0, s0, s6
	global_load_dwordx4 v[4:7], v3, s[8:9]
	v_add_u32_e32 v1, s0, v0
	v_lshlrev_b64 v[1:2], 4, v[1:2]
	v_lshlrev_b32_e32 v27, 4, v22
	v_add_co_u32_e32 v1, vcc, s14, v1
	s_waitcnt vmcnt(0)
	ds_write2_b64 v3, v[4:5], v[6:7] offset1:1
	global_load_dwordx4 v[4:7], v3, s[10:11]
	s_waitcnt vmcnt(0)
	ds_write2_b64 v3, v[4:5], v[6:7] offset0:10 offset1:11
	global_load_dwordx4 v[4:7], v3, s[12:13]
	s_waitcnt vmcnt(0)
	ds_write2_b64 v3, v[4:5], v[6:7] offset0:20 offset1:21
	v_mov_b32_e32 v4, s15
	v_addc_co_u32_e32 v2, vcc, v4, v2, vcc
	global_load_dwordx4 v[4:7], v[1:2], off
	s_waitcnt vmcnt(0)
	ds_write2_b64 v3, v[4:5], v[6:7] offset0:40 offset1:41
	v_sub_u32_e64 v4, v0, 1 clamp
	v_lshlrev_b32_e32 v26, 4, v4
	s_waitcnt lgkmcnt(0)
	; wave barrier
	ds_read_b128 v[4:7], v26 offset:80
	ds_read_b128 v[8:11], v3
	s_waitcnt lgkmcnt(1)
	v_mul_f64 v[12:13], v[6:7], v[6:7]
	v_fma_f64 v[12:13], v[4:5], v[4:5], v[12:13]
	v_div_scale_f64 v[14:15], s[0:1], v[12:13], v[12:13], 1.0
	v_rcp_f64_e32 v[16:17], v[14:15]
	v_fma_f64 v[18:19], -v[14:15], v[16:17], 1.0
	v_fma_f64 v[16:17], v[16:17], v[18:19], v[16:17]
	v_fma_f64 v[18:19], -v[14:15], v[16:17], 1.0
	v_fma_f64 v[16:17], v[16:17], v[18:19], v[16:17]
	v_div_scale_f64 v[18:19], vcc, 1.0, v[12:13], 1.0
	v_mul_f64 v[20:21], v[18:19], v[16:17]
	v_fma_f64 v[14:15], -v[14:15], v[20:21], v[18:19]
	s_nop 1
	v_div_fmas_f64 v[14:15], v[14:15], v[16:17], v[20:21]
	v_div_fixup_f64 v[12:13], v[14:15], v[12:13], 1.0
	s_waitcnt lgkmcnt(0)
	v_mul_f64 v[14:15], v[6:7], v[10:11]
	v_mul_f64 v[6:7], v[6:7], -v[8:9]
	v_fma_f64 v[14:15], v[8:9], v[4:5], v[14:15]
	v_fma_f64 v[4:5], v[10:11], v[4:5], v[6:7]
	v_mul_f64 v[18:19], v[12:13], v[14:15]
	v_mul_f64 v[20:21], v[12:13], v[4:5]
	ds_read_b128 v[4:7], v27 offset:96
	ds_read_b128 v[8:11], v3 offset:160
	s_waitcnt lgkmcnt(1)
	v_mul_f64 v[12:13], v[6:7], v[6:7]
	v_fma_f64 v[12:13], v[4:5], v[4:5], v[12:13]
	v_div_scale_f64 v[14:15], s[0:1], v[12:13], v[12:13], 1.0
	v_rcp_f64_e32 v[16:17], v[14:15]
	v_fma_f64 v[22:23], -v[14:15], v[16:17], 1.0
	v_fma_f64 v[16:17], v[16:17], v[22:23], v[16:17]
	v_fma_f64 v[22:23], -v[14:15], v[16:17], 1.0
	v_fma_f64 v[16:17], v[16:17], v[22:23], v[16:17]
	v_div_scale_f64 v[22:23], vcc, 1.0, v[12:13], 1.0
	v_mul_f64 v[24:25], v[22:23], v[16:17]
	v_fma_f64 v[14:15], -v[14:15], v[24:25], v[22:23]
	s_nop 1
	v_div_fmas_f64 v[14:15], v[14:15], v[16:17], v[24:25]
	v_cmp_gt_u32_e32 vcc, 2, v0
	v_div_fixup_f64 v[12:13], v[14:15], v[12:13], 1.0
	s_waitcnt lgkmcnt(0)
	v_mul_f64 v[14:15], v[6:7], v[10:11]
	v_mul_f64 v[6:7], v[6:7], -v[8:9]
	v_fma_f64 v[14:15], v[8:9], v[4:5], v[14:15]
	v_fma_f64 v[4:5], v[10:11], v[4:5], v[6:7]
	v_mul_f64 v[22:23], v[12:13], v[14:15]
	v_mul_f64 v[24:25], v[12:13], v[4:5]
	ds_read_b128 v[4:7], v26 offset:160
	s_waitcnt lgkmcnt(0)
	v_mul_f64 v[8:9], v[20:21], -v[6:7]
	v_fma_f64 v[8:9], v[4:5], v[18:19], v[8:9]
	v_mul_f64 v[4:5], v[20:21], v[4:5]
	v_fma_f64 v[10:11], v[6:7], v[18:19], v[4:5]
	ds_read_b128 v[4:7], v3 offset:80
	s_waitcnt lgkmcnt(0)
	v_add_f64 v[8:9], v[4:5], -v[8:9]
	v_add_f64 v[10:11], v[6:7], -v[10:11]
	ds_read_b128 v[4:7], v27 offset:16
	s_waitcnt lgkmcnt(0)
	v_mul_f64 v[12:13], v[24:25], -v[6:7]
	v_fma_f64 v[12:13], v[4:5], v[22:23], v[12:13]
	v_mul_f64 v[4:5], v[24:25], v[4:5]
	v_fma_f64 v[6:7], v[6:7], v[22:23], v[4:5]
	v_add_f64 v[4:5], v[8:9], -v[12:13]
	v_add_f64 v[6:7], v[10:11], -v[6:7]
	ds_read_b128 v[8:11], v26 offset:320
	s_waitcnt lgkmcnt(0)
	v_mul_f64 v[12:13], v[20:21], -v[10:11]
	v_fma_f64 v[12:13], v[8:9], v[18:19], v[12:13]
	v_mul_f64 v[8:9], v[20:21], v[8:9]
	v_fma_f64 v[14:15], v[10:11], v[18:19], v[8:9]
	ds_read_b128 v[8:11], v3 offset:320
	s_waitcnt lgkmcnt(0)
	v_add_f64 v[12:13], v[8:9], -v[12:13]
	v_add_f64 v[14:15], v[10:11], -v[14:15]
	ds_read_b128 v[8:11], v27 offset:336
	s_waitcnt lgkmcnt(0)
	v_mul_f64 v[16:17], v[24:25], -v[10:11]
	v_fma_f64 v[16:17], v[8:9], v[22:23], v[16:17]
	v_mul_f64 v[8:9], v[24:25], v[8:9]
	v_fma_f64 v[10:11], v[10:11], v[22:23], v[8:9]
	v_add_f64 v[8:9], v[12:13], -v[16:17]
	v_add_f64 v[10:11], v[14:15], -v[10:11]
	ds_read_b128 v[12:15], v26
	s_waitcnt lgkmcnt(0)
	v_mul_f64 v[16:17], v[20:21], v[14:15]
	v_fma_f64 v[16:17], -v[12:13], v[18:19], v[16:17]
	v_mul_f64 v[12:13], v[20:21], -v[12:13]
	v_fma_f64 v[18:19], -v[14:15], v[18:19], v[12:13]
	ds_read_b128 v[12:15], v27 offset:176
	s_waitcnt lgkmcnt(0)
	; wave barrier
	v_mul_f64 v[20:21], v[24:25], v[14:15]
	v_fma_f64 v[20:21], -v[12:13], v[22:23], v[20:21]
	v_mul_f64 v[12:13], v[24:25], -v[12:13]
	v_fma_f64 v[22:23], -v[14:15], v[22:23], v[12:13]
	ds_write_b128 v3, v[4:7] offset:80
	ds_write_b128 v3, v[8:11] offset:320
	ds_write_b128 v3, v[16:19]
	ds_write_b128 v3, v[20:23] offset:160
	s_waitcnt lgkmcnt(0)
	; wave barrier
	s_and_saveexec_b64 s[0:1], vcc
	s_cbranch_execz .LBB76_2
; %bb.1:
	v_add_u32_e32 v0, 0x50, v3
	ds_read_b128 v[4:7], v0
	ds_read_b128 v[8:11], v0 offset:32
	v_or_b32_e32 v0, 0x140, v3
	ds_read_b128 v[12:15], v0 offset:32
	v_add_u32_e32 v16, 0xa0, v3
	ds_read_b128 v[16:19], v16
	ds_read_b128 v[20:23], v3 offset:32
	s_waitcnt lgkmcnt(3)
	v_mul_f64 v[28:29], v[6:7], -v[10:11]
	v_mul_f64 v[30:31], v[6:7], v[8:9]
	s_waitcnt lgkmcnt(2)
	v_mul_f64 v[32:33], v[6:7], -v[14:15]
	v_mul_f64 v[6:7], v[6:7], v[12:13]
	ds_read_b128 v[24:27], v0
	v_fma_f64 v[28:29], v[8:9], v[4:5], v[28:29]
	v_fma_f64 v[30:31], v[10:11], v[4:5], v[30:31]
	;; [unrolled: 1-line block ×4, first 2 shown]
	s_waitcnt lgkmcnt(2)
	v_mul_f64 v[6:7], v[14:15], -v[18:19]
	v_mul_f64 v[14:15], v[16:17], v[14:15]
	v_fma_f64 v[6:7], v[16:17], v[12:13], v[6:7]
	v_fma_f64 v[12:13], v[18:19], v[12:13], v[14:15]
	s_waitcnt lgkmcnt(1)
	v_mul_f64 v[14:15], v[22:23], v[16:17]
	v_fma_f64 v[14:15], v[18:19], v[20:21], v[14:15]
	v_mul_f64 v[18:19], v[22:23], -v[18:19]
	v_add_f64 v[14:15], v[30:31], -v[14:15]
	v_fma_f64 v[16:17], v[16:17], v[20:21], v[18:19]
	s_waitcnt lgkmcnt(0)
	v_mul_f64 v[18:19], v[26:27], -v[10:11]
	v_mul_f64 v[30:31], v[8:9], v[26:27]
	v_add_f64 v[16:17], v[28:29], -v[16:17]
	v_mul_f64 v[28:29], v[14:15], v[14:15]
	v_fma_f64 v[8:9], v[8:9], v[24:25], v[18:19]
	v_mul_f64 v[18:19], v[22:23], -v[26:27]
	v_mul_f64 v[22:23], v[22:23], v[24:25]
	v_fma_f64 v[10:11], v[10:11], v[24:25], v[30:31]
	v_fma_f64 v[28:29], v[16:17], v[16:17], v[28:29]
	v_add_f64 v[6:7], v[8:9], -v[6:7]
	v_fma_f64 v[18:19], v[24:25], v[20:21], v[18:19]
	v_fma_f64 v[20:21], v[26:27], v[20:21], v[22:23]
	v_add_f64 v[10:11], v[10:11], -v[12:13]
	v_fma_f64 v[12:13], v[14:15], 0, v[16:17]
	v_div_scale_f64 v[22:23], s[2:3], v[28:29], v[28:29], 1.0
	v_add_f64 v[8:9], v[32:33], -v[18:19]
	v_rcp_f64_e32 v[24:25], v[22:23]
	v_fma_f64 v[26:27], -v[22:23], v[24:25], 1.0
	v_fma_f64 v[24:25], v[24:25], v[26:27], v[24:25]
	v_div_scale_f64 v[26:27], vcc, 1.0, v[28:29], 1.0
	v_fma_f64 v[30:31], -v[22:23], v[24:25], 1.0
	v_fma_f64 v[24:25], v[24:25], v[30:31], v[24:25]
	v_mul_f64 v[30:31], v[26:27], v[24:25]
	v_fma_f64 v[22:23], -v[22:23], v[30:31], v[26:27]
	v_div_fmas_f64 v[22:23], v[22:23], v[24:25], v[30:31]
	v_fma_f64 v[24:25], v[16:17], 0, -v[14:15]
	v_add_f64 v[16:17], v[4:5], -v[20:21]
	v_div_fixup_f64 v[22:23], v[22:23], v[28:29], 1.0
	v_mul_f64 v[14:15], v[24:25], v[22:23]
	v_mul_f64 v[12:13], v[12:13], v[22:23]
	v_mul_f64 v[4:5], v[14:15], -v[10:11]
	v_mul_f64 v[18:19], v[14:15], v[6:7]
	v_mul_f64 v[20:21], v[14:15], -v[16:17]
	v_mul_f64 v[14:15], v[14:15], v[8:9]
	v_fma_f64 v[4:5], v[6:7], v[12:13], v[4:5]
	v_fma_f64 v[6:7], v[10:11], v[12:13], v[18:19]
	;; [unrolled: 1-line block ×4, first 2 shown]
	ds_write_b128 v3, v[4:7] offset:240
	ds_write_b128 v3, v[8:11] offset:272
.LBB76_2:
	s_or_b64 exec, exec, s[0:1]
	s_waitcnt lgkmcnt(0)
	; wave barrier
	ds_read2_b64 v[3:6], v3 offset0:30 offset1:31
	s_waitcnt lgkmcnt(0)
	global_store_dwordx4 v[1:2], v[3:6], off
	s_endpgm
	.section	.rodata,"a",@progbits
	.p2align	6, 0x0
	.amdhsa_kernel _ZN9rocsparseL35gtsv_nopivot_pcr_pow2_shared_kernelILj4E21rocsparse_complex_numIdEEEviiiPKT0_S5_S5_PS3_
		.amdhsa_group_segment_fixed_size 400
		.amdhsa_private_segment_fixed_size 0
		.amdhsa_kernarg_size 48
		.amdhsa_user_sgpr_count 6
		.amdhsa_user_sgpr_private_segment_buffer 1
		.amdhsa_user_sgpr_dispatch_ptr 0
		.amdhsa_user_sgpr_queue_ptr 0
		.amdhsa_user_sgpr_kernarg_segment_ptr 1
		.amdhsa_user_sgpr_dispatch_id 0
		.amdhsa_user_sgpr_flat_scratch_init 0
		.amdhsa_user_sgpr_private_segment_size 0
		.amdhsa_uses_dynamic_stack 0
		.amdhsa_system_sgpr_private_segment_wavefront_offset 0
		.amdhsa_system_sgpr_workgroup_id_x 1
		.amdhsa_system_sgpr_workgroup_id_y 0
		.amdhsa_system_sgpr_workgroup_id_z 0
		.amdhsa_system_sgpr_workgroup_info 0
		.amdhsa_system_vgpr_workitem_id 0
		.amdhsa_next_free_vgpr 34
		.amdhsa_next_free_sgpr 16
		.amdhsa_reserve_vcc 1
		.amdhsa_reserve_flat_scratch 0
		.amdhsa_float_round_mode_32 0
		.amdhsa_float_round_mode_16_64 0
		.amdhsa_float_denorm_mode_32 3
		.amdhsa_float_denorm_mode_16_64 3
		.amdhsa_dx10_clamp 1
		.amdhsa_ieee_mode 1
		.amdhsa_fp16_overflow 0
		.amdhsa_exception_fp_ieee_invalid_op 0
		.amdhsa_exception_fp_denorm_src 0
		.amdhsa_exception_fp_ieee_div_zero 0
		.amdhsa_exception_fp_ieee_overflow 0
		.amdhsa_exception_fp_ieee_underflow 0
		.amdhsa_exception_fp_ieee_inexact 0
		.amdhsa_exception_int_div_zero 0
	.end_amdhsa_kernel
	.section	.text._ZN9rocsparseL35gtsv_nopivot_pcr_pow2_shared_kernelILj4E21rocsparse_complex_numIdEEEviiiPKT0_S5_S5_PS3_,"axG",@progbits,_ZN9rocsparseL35gtsv_nopivot_pcr_pow2_shared_kernelILj4E21rocsparse_complex_numIdEEEviiiPKT0_S5_S5_PS3_,comdat
.Lfunc_end76:
	.size	_ZN9rocsparseL35gtsv_nopivot_pcr_pow2_shared_kernelILj4E21rocsparse_complex_numIdEEEviiiPKT0_S5_S5_PS3_, .Lfunc_end76-_ZN9rocsparseL35gtsv_nopivot_pcr_pow2_shared_kernelILj4E21rocsparse_complex_numIdEEEviiiPKT0_S5_S5_PS3_
                                        ; -- End function
	.set _ZN9rocsparseL35gtsv_nopivot_pcr_pow2_shared_kernelILj4E21rocsparse_complex_numIdEEEviiiPKT0_S5_S5_PS3_.num_vgpr, 34
	.set _ZN9rocsparseL35gtsv_nopivot_pcr_pow2_shared_kernelILj4E21rocsparse_complex_numIdEEEviiiPKT0_S5_S5_PS3_.num_agpr, 0
	.set _ZN9rocsparseL35gtsv_nopivot_pcr_pow2_shared_kernelILj4E21rocsparse_complex_numIdEEEviiiPKT0_S5_S5_PS3_.numbered_sgpr, 16
	.set _ZN9rocsparseL35gtsv_nopivot_pcr_pow2_shared_kernelILj4E21rocsparse_complex_numIdEEEviiiPKT0_S5_S5_PS3_.num_named_barrier, 0
	.set _ZN9rocsparseL35gtsv_nopivot_pcr_pow2_shared_kernelILj4E21rocsparse_complex_numIdEEEviiiPKT0_S5_S5_PS3_.private_seg_size, 0
	.set _ZN9rocsparseL35gtsv_nopivot_pcr_pow2_shared_kernelILj4E21rocsparse_complex_numIdEEEviiiPKT0_S5_S5_PS3_.uses_vcc, 1
	.set _ZN9rocsparseL35gtsv_nopivot_pcr_pow2_shared_kernelILj4E21rocsparse_complex_numIdEEEviiiPKT0_S5_S5_PS3_.uses_flat_scratch, 0
	.set _ZN9rocsparseL35gtsv_nopivot_pcr_pow2_shared_kernelILj4E21rocsparse_complex_numIdEEEviiiPKT0_S5_S5_PS3_.has_dyn_sized_stack, 0
	.set _ZN9rocsparseL35gtsv_nopivot_pcr_pow2_shared_kernelILj4E21rocsparse_complex_numIdEEEviiiPKT0_S5_S5_PS3_.has_recursion, 0
	.set _ZN9rocsparseL35gtsv_nopivot_pcr_pow2_shared_kernelILj4E21rocsparse_complex_numIdEEEviiiPKT0_S5_S5_PS3_.has_indirect_call, 0
	.section	.AMDGPU.csdata,"",@progbits
; Kernel info:
; codeLenInByte = 1488
; TotalNumSgprs: 20
; NumVgprs: 34
; ScratchSize: 0
; MemoryBound: 0
; FloatMode: 240
; IeeeMode: 1
; LDSByteSize: 400 bytes/workgroup (compile time only)
; SGPRBlocks: 2
; VGPRBlocks: 8
; NumSGPRsForWavesPerEU: 20
; NumVGPRsForWavesPerEU: 34
; Occupancy: 7
; WaveLimiterHint : 0
; COMPUTE_PGM_RSRC2:SCRATCH_EN: 0
; COMPUTE_PGM_RSRC2:USER_SGPR: 6
; COMPUTE_PGM_RSRC2:TRAP_HANDLER: 0
; COMPUTE_PGM_RSRC2:TGID_X_EN: 1
; COMPUTE_PGM_RSRC2:TGID_Y_EN: 0
; COMPUTE_PGM_RSRC2:TGID_Z_EN: 0
; COMPUTE_PGM_RSRC2:TIDIG_COMP_CNT: 0
	.section	.text._ZN9rocsparseL35gtsv_nopivot_pcr_pow2_shared_kernelILj8E21rocsparse_complex_numIdEEEviiiPKT0_S5_S5_PS3_,"axG",@progbits,_ZN9rocsparseL35gtsv_nopivot_pcr_pow2_shared_kernelILj8E21rocsparse_complex_numIdEEEviiiPKT0_S5_S5_PS3_,comdat
	.globl	_ZN9rocsparseL35gtsv_nopivot_pcr_pow2_shared_kernelILj8E21rocsparse_complex_numIdEEEviiiPKT0_S5_S5_PS3_ ; -- Begin function _ZN9rocsparseL35gtsv_nopivot_pcr_pow2_shared_kernelILj8E21rocsparse_complex_numIdEEEviiiPKT0_S5_S5_PS3_
	.p2align	8
	.type	_ZN9rocsparseL35gtsv_nopivot_pcr_pow2_shared_kernelILj8E21rocsparse_complex_numIdEEEviiiPKT0_S5_S5_PS3_,@function
_ZN9rocsparseL35gtsv_nopivot_pcr_pow2_shared_kernelILj8E21rocsparse_complex_numIdEEEviiiPKT0_S5_S5_PS3_: ; @_ZN9rocsparseL35gtsv_nopivot_pcr_pow2_shared_kernelILj8E21rocsparse_complex_numIdEEEviiiPKT0_S5_S5_PS3_
; %bb.0:
	s_load_dword s0, s[4:5], 0x8
	s_load_dwordx8 s[8:15], s[4:5], 0x10
	v_lshlrev_b32_e32 v3, 4, v0
	v_mov_b32_e32 v2, 0
	v_min_u32_e32 v22, 6, v0
	s_waitcnt lgkmcnt(0)
	s_mul_i32 s0, s0, s6
	global_load_dwordx4 v[4:7], v3, s[8:9]
	v_add_u32_e32 v1, s0, v0
	v_lshlrev_b64 v[1:2], 4, v[1:2]
	v_lshlrev_b32_e32 v27, 4, v22
	v_add_co_u32_e32 v1, vcc, s14, v1
	s_waitcnt vmcnt(0)
	ds_write2_b64 v3, v[4:5], v[6:7] offset1:1
	global_load_dwordx4 v[4:7], v3, s[10:11]
	s_waitcnt vmcnt(0)
	ds_write2_b64 v3, v[4:5], v[6:7] offset0:18 offset1:19
	global_load_dwordx4 v[4:7], v3, s[12:13]
	s_waitcnt vmcnt(0)
	ds_write2_b64 v3, v[4:5], v[6:7] offset0:36 offset1:37
	v_mov_b32_e32 v4, s15
	v_addc_co_u32_e32 v2, vcc, v4, v2, vcc
	global_load_dwordx4 v[4:7], v[1:2], off
	s_waitcnt vmcnt(0)
	ds_write2_b64 v3, v[4:5], v[6:7] offset0:72 offset1:73
	v_sub_u32_e64 v4, v0, 1 clamp
	v_lshlrev_b32_e32 v26, 4, v4
	s_waitcnt lgkmcnt(0)
	; wave barrier
	ds_read_b128 v[4:7], v26 offset:144
	ds_read_b128 v[8:11], v3
	s_waitcnt lgkmcnt(1)
	v_mul_f64 v[12:13], v[6:7], v[6:7]
	v_fma_f64 v[12:13], v[4:5], v[4:5], v[12:13]
	v_div_scale_f64 v[14:15], s[0:1], v[12:13], v[12:13], 1.0
	v_rcp_f64_e32 v[16:17], v[14:15]
	v_fma_f64 v[18:19], -v[14:15], v[16:17], 1.0
	v_fma_f64 v[16:17], v[16:17], v[18:19], v[16:17]
	v_fma_f64 v[18:19], -v[14:15], v[16:17], 1.0
	v_fma_f64 v[16:17], v[16:17], v[18:19], v[16:17]
	v_div_scale_f64 v[18:19], vcc, 1.0, v[12:13], 1.0
	v_mul_f64 v[20:21], v[18:19], v[16:17]
	v_fma_f64 v[14:15], -v[14:15], v[20:21], v[18:19]
	s_nop 1
	v_div_fmas_f64 v[14:15], v[14:15], v[16:17], v[20:21]
	v_div_fixup_f64 v[12:13], v[14:15], v[12:13], 1.0
	s_waitcnt lgkmcnt(0)
	v_mul_f64 v[14:15], v[6:7], v[10:11]
	v_mul_f64 v[6:7], v[6:7], -v[8:9]
	v_fma_f64 v[14:15], v[8:9], v[4:5], v[14:15]
	v_fma_f64 v[4:5], v[10:11], v[4:5], v[6:7]
	v_mul_f64 v[18:19], v[12:13], v[14:15]
	v_mul_f64 v[20:21], v[12:13], v[4:5]
	ds_read_b128 v[4:7], v27 offset:160
	ds_read_b128 v[8:11], v3 offset:288
	s_waitcnt lgkmcnt(1)
	v_mul_f64 v[12:13], v[6:7], v[6:7]
	v_fma_f64 v[12:13], v[4:5], v[4:5], v[12:13]
	v_div_scale_f64 v[14:15], s[0:1], v[12:13], v[12:13], 1.0
	v_rcp_f64_e32 v[16:17], v[14:15]
	v_fma_f64 v[22:23], -v[14:15], v[16:17], 1.0
	v_fma_f64 v[16:17], v[16:17], v[22:23], v[16:17]
	v_fma_f64 v[22:23], -v[14:15], v[16:17], 1.0
	v_fma_f64 v[16:17], v[16:17], v[22:23], v[16:17]
	v_div_scale_f64 v[22:23], vcc, 1.0, v[12:13], 1.0
	v_mul_f64 v[24:25], v[22:23], v[16:17]
	v_fma_f64 v[14:15], -v[14:15], v[24:25], v[22:23]
	s_nop 1
	v_div_fmas_f64 v[14:15], v[14:15], v[16:17], v[24:25]
	v_div_fixup_f64 v[12:13], v[14:15], v[12:13], 1.0
	s_waitcnt lgkmcnt(0)
	v_mul_f64 v[14:15], v[6:7], v[10:11]
	v_mul_f64 v[6:7], v[6:7], -v[8:9]
	v_fma_f64 v[14:15], v[8:9], v[4:5], v[14:15]
	v_fma_f64 v[4:5], v[10:11], v[4:5], v[6:7]
	v_mul_f64 v[22:23], v[12:13], v[14:15]
	v_mul_f64 v[24:25], v[12:13], v[4:5]
	ds_read_b128 v[4:7], v26 offset:288
	s_waitcnt lgkmcnt(0)
	v_mul_f64 v[8:9], v[20:21], -v[6:7]
	v_fma_f64 v[8:9], v[4:5], v[18:19], v[8:9]
	v_mul_f64 v[4:5], v[20:21], v[4:5]
	v_fma_f64 v[10:11], v[6:7], v[18:19], v[4:5]
	ds_read_b128 v[4:7], v3 offset:144
	s_waitcnt lgkmcnt(0)
	v_add_f64 v[8:9], v[4:5], -v[8:9]
	v_add_f64 v[10:11], v[6:7], -v[10:11]
	ds_read_b128 v[4:7], v27 offset:16
	s_waitcnt lgkmcnt(0)
	v_mul_f64 v[12:13], v[24:25], -v[6:7]
	v_fma_f64 v[12:13], v[4:5], v[22:23], v[12:13]
	v_mul_f64 v[4:5], v[24:25], v[4:5]
	v_fma_f64 v[6:7], v[6:7], v[22:23], v[4:5]
	v_add_f64 v[4:5], v[8:9], -v[12:13]
	v_add_f64 v[6:7], v[10:11], -v[6:7]
	ds_read_b128 v[8:11], v26 offset:576
	s_waitcnt lgkmcnt(0)
	v_mul_f64 v[12:13], v[20:21], -v[10:11]
	v_fma_f64 v[12:13], v[8:9], v[18:19], v[12:13]
	v_mul_f64 v[8:9], v[20:21], v[8:9]
	v_fma_f64 v[14:15], v[10:11], v[18:19], v[8:9]
	ds_read_b128 v[8:11], v3 offset:576
	s_waitcnt lgkmcnt(0)
	v_add_f64 v[12:13], v[8:9], -v[12:13]
	v_add_f64 v[14:15], v[10:11], -v[14:15]
	ds_read_b128 v[8:11], v27 offset:592
	s_waitcnt lgkmcnt(0)
	v_mul_f64 v[16:17], v[24:25], -v[10:11]
	v_fma_f64 v[16:17], v[8:9], v[22:23], v[16:17]
	v_mul_f64 v[8:9], v[24:25], v[8:9]
	v_fma_f64 v[10:11], v[10:11], v[22:23], v[8:9]
	v_add_f64 v[8:9], v[12:13], -v[16:17]
	v_add_f64 v[10:11], v[14:15], -v[10:11]
	ds_read_b128 v[12:15], v26
	s_waitcnt lgkmcnt(0)
	v_mul_f64 v[16:17], v[20:21], v[14:15]
	v_fma_f64 v[16:17], -v[12:13], v[18:19], v[16:17]
	v_mul_f64 v[12:13], v[20:21], -v[12:13]
	v_fma_f64 v[18:19], -v[14:15], v[18:19], v[12:13]
	ds_read_b128 v[12:15], v27 offset:304
	s_waitcnt lgkmcnt(0)
	; wave barrier
	v_mul_f64 v[20:21], v[24:25], v[14:15]
	v_fma_f64 v[20:21], -v[12:13], v[22:23], v[20:21]
	v_mul_f64 v[12:13], v[24:25], -v[12:13]
	v_fma_f64 v[22:23], -v[14:15], v[22:23], v[12:13]
	ds_write_b128 v3, v[4:7] offset:144
	ds_write_b128 v3, v[8:11] offset:576
	ds_write_b128 v3, v[16:19]
	ds_write_b128 v3, v[20:23] offset:288
	v_sub_u32_e64 v4, v0, 2 clamp
	v_lshlrev_b32_e32 v26, 4, v4
	s_waitcnt lgkmcnt(0)
	; wave barrier
	ds_read_b128 v[4:7], v26 offset:144
	ds_read_b128 v[8:11], v3
	v_min_u32_e32 v22, 5, v0
	v_lshlrev_b32_e32 v27, 4, v22
	s_waitcnt lgkmcnt(1)
	v_mul_f64 v[12:13], v[6:7], v[6:7]
	v_fma_f64 v[12:13], v[4:5], v[4:5], v[12:13]
	v_div_scale_f64 v[14:15], s[0:1], v[12:13], v[12:13], 1.0
	v_rcp_f64_e32 v[16:17], v[14:15]
	v_fma_f64 v[18:19], -v[14:15], v[16:17], 1.0
	v_fma_f64 v[16:17], v[16:17], v[18:19], v[16:17]
	v_fma_f64 v[18:19], -v[14:15], v[16:17], 1.0
	v_fma_f64 v[16:17], v[16:17], v[18:19], v[16:17]
	v_div_scale_f64 v[18:19], vcc, 1.0, v[12:13], 1.0
	v_mul_f64 v[20:21], v[18:19], v[16:17]
	v_fma_f64 v[14:15], -v[14:15], v[20:21], v[18:19]
	s_nop 1
	v_div_fmas_f64 v[14:15], v[14:15], v[16:17], v[20:21]
	v_div_fixup_f64 v[12:13], v[14:15], v[12:13], 1.0
	s_waitcnt lgkmcnt(0)
	v_mul_f64 v[14:15], v[6:7], v[10:11]
	v_mul_f64 v[6:7], v[6:7], -v[8:9]
	v_fma_f64 v[14:15], v[8:9], v[4:5], v[14:15]
	v_fma_f64 v[4:5], v[10:11], v[4:5], v[6:7]
	v_mul_f64 v[18:19], v[12:13], v[14:15]
	v_mul_f64 v[20:21], v[12:13], v[4:5]
	ds_read_b128 v[4:7], v27 offset:176
	ds_read_b128 v[8:11], v3 offset:288
	s_waitcnt lgkmcnt(1)
	v_mul_f64 v[12:13], v[6:7], v[6:7]
	v_fma_f64 v[12:13], v[4:5], v[4:5], v[12:13]
	v_div_scale_f64 v[14:15], s[0:1], v[12:13], v[12:13], 1.0
	v_rcp_f64_e32 v[16:17], v[14:15]
	v_fma_f64 v[22:23], -v[14:15], v[16:17], 1.0
	v_fma_f64 v[16:17], v[16:17], v[22:23], v[16:17]
	v_fma_f64 v[22:23], -v[14:15], v[16:17], 1.0
	v_fma_f64 v[16:17], v[16:17], v[22:23], v[16:17]
	v_div_scale_f64 v[22:23], vcc, 1.0, v[12:13], 1.0
	v_mul_f64 v[24:25], v[22:23], v[16:17]
	v_fma_f64 v[14:15], -v[14:15], v[24:25], v[22:23]
	s_nop 1
	v_div_fmas_f64 v[14:15], v[14:15], v[16:17], v[24:25]
	v_cmp_gt_u32_e32 vcc, 4, v0
	v_div_fixup_f64 v[12:13], v[14:15], v[12:13], 1.0
	s_waitcnt lgkmcnt(0)
	v_mul_f64 v[14:15], v[6:7], v[10:11]
	v_mul_f64 v[6:7], v[6:7], -v[8:9]
	v_fma_f64 v[14:15], v[8:9], v[4:5], v[14:15]
	v_fma_f64 v[4:5], v[10:11], v[4:5], v[6:7]
	v_mul_f64 v[22:23], v[12:13], v[14:15]
	v_mul_f64 v[24:25], v[12:13], v[4:5]
	ds_read_b128 v[4:7], v26 offset:288
	s_waitcnt lgkmcnt(0)
	v_mul_f64 v[8:9], v[20:21], -v[6:7]
	v_fma_f64 v[8:9], v[4:5], v[18:19], v[8:9]
	v_mul_f64 v[4:5], v[20:21], v[4:5]
	v_fma_f64 v[10:11], v[6:7], v[18:19], v[4:5]
	ds_read_b128 v[4:7], v3 offset:144
	s_waitcnt lgkmcnt(0)
	v_add_f64 v[8:9], v[4:5], -v[8:9]
	v_add_f64 v[10:11], v[6:7], -v[10:11]
	ds_read_b128 v[4:7], v27 offset:32
	s_waitcnt lgkmcnt(0)
	v_mul_f64 v[12:13], v[24:25], -v[6:7]
	v_fma_f64 v[12:13], v[4:5], v[22:23], v[12:13]
	v_mul_f64 v[4:5], v[24:25], v[4:5]
	v_fma_f64 v[6:7], v[6:7], v[22:23], v[4:5]
	v_add_f64 v[4:5], v[8:9], -v[12:13]
	v_add_f64 v[6:7], v[10:11], -v[6:7]
	ds_read_b128 v[8:11], v26 offset:576
	s_waitcnt lgkmcnt(0)
	v_mul_f64 v[12:13], v[20:21], -v[10:11]
	v_fma_f64 v[12:13], v[8:9], v[18:19], v[12:13]
	v_mul_f64 v[8:9], v[20:21], v[8:9]
	v_fma_f64 v[14:15], v[10:11], v[18:19], v[8:9]
	ds_read_b128 v[8:11], v3 offset:576
	s_waitcnt lgkmcnt(0)
	v_add_f64 v[12:13], v[8:9], -v[12:13]
	v_add_f64 v[14:15], v[10:11], -v[14:15]
	ds_read_b128 v[8:11], v27 offset:608
	s_waitcnt lgkmcnt(0)
	v_mul_f64 v[16:17], v[24:25], -v[10:11]
	v_fma_f64 v[16:17], v[8:9], v[22:23], v[16:17]
	v_mul_f64 v[8:9], v[24:25], v[8:9]
	v_fma_f64 v[10:11], v[10:11], v[22:23], v[8:9]
	v_add_f64 v[8:9], v[12:13], -v[16:17]
	v_add_f64 v[10:11], v[14:15], -v[10:11]
	ds_read_b128 v[12:15], v26
	s_waitcnt lgkmcnt(0)
	v_mul_f64 v[16:17], v[20:21], v[14:15]
	v_fma_f64 v[16:17], -v[12:13], v[18:19], v[16:17]
	v_mul_f64 v[12:13], v[20:21], -v[12:13]
	v_fma_f64 v[18:19], -v[14:15], v[18:19], v[12:13]
	ds_read_b128 v[12:15], v27 offset:320
	s_waitcnt lgkmcnt(0)
	; wave barrier
	v_mul_f64 v[20:21], v[24:25], v[14:15]
	v_fma_f64 v[20:21], -v[12:13], v[22:23], v[20:21]
	v_mul_f64 v[12:13], v[24:25], -v[12:13]
	v_fma_f64 v[22:23], -v[14:15], v[22:23], v[12:13]
	ds_write_b128 v3, v[4:7] offset:144
	ds_write_b128 v3, v[8:11] offset:576
	ds_write_b128 v3, v[16:19]
	ds_write_b128 v3, v[20:23] offset:288
	s_waitcnt lgkmcnt(0)
	; wave barrier
	s_and_saveexec_b64 s[0:1], vcc
	s_cbranch_execz .LBB77_2
; %bb.1:
	v_add_u32_e32 v0, 0x90, v3
	ds_read_b128 v[4:7], v0
	ds_read_b128 v[8:11], v0 offset:64
	v_add_u32_e32 v0, 0x240, v3
	ds_read_b128 v[12:15], v0 offset:64
	v_add_u32_e32 v16, 0x120, v3
	ds_read_b128 v[16:19], v16
	ds_read_b128 v[20:23], v3 offset:64
	s_waitcnt lgkmcnt(3)
	v_mul_f64 v[28:29], v[6:7], -v[10:11]
	v_mul_f64 v[30:31], v[6:7], v[8:9]
	s_waitcnt lgkmcnt(2)
	v_mul_f64 v[32:33], v[6:7], -v[14:15]
	v_mul_f64 v[6:7], v[6:7], v[12:13]
	ds_read_b128 v[24:27], v0
	v_fma_f64 v[28:29], v[8:9], v[4:5], v[28:29]
	v_fma_f64 v[30:31], v[10:11], v[4:5], v[30:31]
	;; [unrolled: 1-line block ×4, first 2 shown]
	s_waitcnt lgkmcnt(2)
	v_mul_f64 v[6:7], v[14:15], -v[18:19]
	v_mul_f64 v[14:15], v[16:17], v[14:15]
	v_fma_f64 v[6:7], v[16:17], v[12:13], v[6:7]
	v_fma_f64 v[12:13], v[18:19], v[12:13], v[14:15]
	s_waitcnt lgkmcnt(1)
	v_mul_f64 v[14:15], v[22:23], v[16:17]
	v_fma_f64 v[14:15], v[18:19], v[20:21], v[14:15]
	v_mul_f64 v[18:19], v[22:23], -v[18:19]
	v_add_f64 v[14:15], v[30:31], -v[14:15]
	v_fma_f64 v[16:17], v[16:17], v[20:21], v[18:19]
	s_waitcnt lgkmcnt(0)
	v_mul_f64 v[18:19], v[26:27], -v[10:11]
	v_mul_f64 v[30:31], v[8:9], v[26:27]
	v_add_f64 v[16:17], v[28:29], -v[16:17]
	v_mul_f64 v[28:29], v[14:15], v[14:15]
	v_fma_f64 v[8:9], v[8:9], v[24:25], v[18:19]
	v_mul_f64 v[18:19], v[22:23], -v[26:27]
	v_mul_f64 v[22:23], v[22:23], v[24:25]
	v_fma_f64 v[10:11], v[10:11], v[24:25], v[30:31]
	v_fma_f64 v[28:29], v[16:17], v[16:17], v[28:29]
	v_add_f64 v[6:7], v[8:9], -v[6:7]
	v_fma_f64 v[18:19], v[24:25], v[20:21], v[18:19]
	v_fma_f64 v[20:21], v[26:27], v[20:21], v[22:23]
	v_add_f64 v[10:11], v[10:11], -v[12:13]
	v_fma_f64 v[12:13], v[14:15], 0, v[16:17]
	v_div_scale_f64 v[22:23], s[2:3], v[28:29], v[28:29], 1.0
	v_add_f64 v[8:9], v[32:33], -v[18:19]
	v_rcp_f64_e32 v[24:25], v[22:23]
	v_fma_f64 v[26:27], -v[22:23], v[24:25], 1.0
	v_fma_f64 v[24:25], v[24:25], v[26:27], v[24:25]
	v_div_scale_f64 v[26:27], vcc, 1.0, v[28:29], 1.0
	v_fma_f64 v[30:31], -v[22:23], v[24:25], 1.0
	v_fma_f64 v[24:25], v[24:25], v[30:31], v[24:25]
	v_mul_f64 v[30:31], v[26:27], v[24:25]
	v_fma_f64 v[22:23], -v[22:23], v[30:31], v[26:27]
	v_div_fmas_f64 v[22:23], v[22:23], v[24:25], v[30:31]
	v_fma_f64 v[24:25], v[16:17], 0, -v[14:15]
	v_add_f64 v[16:17], v[4:5], -v[20:21]
	v_div_fixup_f64 v[22:23], v[22:23], v[28:29], 1.0
	v_mul_f64 v[14:15], v[24:25], v[22:23]
	v_mul_f64 v[12:13], v[12:13], v[22:23]
	v_mul_f64 v[4:5], v[14:15], -v[10:11]
	v_mul_f64 v[18:19], v[14:15], v[6:7]
	v_mul_f64 v[20:21], v[14:15], -v[16:17]
	v_mul_f64 v[14:15], v[14:15], v[8:9]
	v_fma_f64 v[4:5], v[6:7], v[12:13], v[4:5]
	v_fma_f64 v[6:7], v[10:11], v[12:13], v[18:19]
	;; [unrolled: 1-line block ×4, first 2 shown]
	ds_write_b128 v3, v[4:7] offset:432
	ds_write_b128 v3, v[8:11] offset:496
.LBB77_2:
	s_or_b64 exec, exec, s[0:1]
	s_waitcnt lgkmcnt(0)
	; wave barrier
	ds_read2_b64 v[3:6], v3 offset0:54 offset1:55
	s_waitcnt lgkmcnt(0)
	global_store_dwordx4 v[1:2], v[3:6], off
	s_endpgm
	.section	.rodata,"a",@progbits
	.p2align	6, 0x0
	.amdhsa_kernel _ZN9rocsparseL35gtsv_nopivot_pcr_pow2_shared_kernelILj8E21rocsparse_complex_numIdEEEviiiPKT0_S5_S5_PS3_
		.amdhsa_group_segment_fixed_size 720
		.amdhsa_private_segment_fixed_size 0
		.amdhsa_kernarg_size 48
		.amdhsa_user_sgpr_count 6
		.amdhsa_user_sgpr_private_segment_buffer 1
		.amdhsa_user_sgpr_dispatch_ptr 0
		.amdhsa_user_sgpr_queue_ptr 0
		.amdhsa_user_sgpr_kernarg_segment_ptr 1
		.amdhsa_user_sgpr_dispatch_id 0
		.amdhsa_user_sgpr_flat_scratch_init 0
		.amdhsa_user_sgpr_private_segment_size 0
		.amdhsa_uses_dynamic_stack 0
		.amdhsa_system_sgpr_private_segment_wavefront_offset 0
		.amdhsa_system_sgpr_workgroup_id_x 1
		.amdhsa_system_sgpr_workgroup_id_y 0
		.amdhsa_system_sgpr_workgroup_id_z 0
		.amdhsa_system_sgpr_workgroup_info 0
		.amdhsa_system_vgpr_workitem_id 0
		.amdhsa_next_free_vgpr 34
		.amdhsa_next_free_sgpr 16
		.amdhsa_reserve_vcc 1
		.amdhsa_reserve_flat_scratch 0
		.amdhsa_float_round_mode_32 0
		.amdhsa_float_round_mode_16_64 0
		.amdhsa_float_denorm_mode_32 3
		.amdhsa_float_denorm_mode_16_64 3
		.amdhsa_dx10_clamp 1
		.amdhsa_ieee_mode 1
		.amdhsa_fp16_overflow 0
		.amdhsa_exception_fp_ieee_invalid_op 0
		.amdhsa_exception_fp_denorm_src 0
		.amdhsa_exception_fp_ieee_div_zero 0
		.amdhsa_exception_fp_ieee_overflow 0
		.amdhsa_exception_fp_ieee_underflow 0
		.amdhsa_exception_fp_ieee_inexact 0
		.amdhsa_exception_int_div_zero 0
	.end_amdhsa_kernel
	.section	.text._ZN9rocsparseL35gtsv_nopivot_pcr_pow2_shared_kernelILj8E21rocsparse_complex_numIdEEEviiiPKT0_S5_S5_PS3_,"axG",@progbits,_ZN9rocsparseL35gtsv_nopivot_pcr_pow2_shared_kernelILj8E21rocsparse_complex_numIdEEEviiiPKT0_S5_S5_PS3_,comdat
.Lfunc_end77:
	.size	_ZN9rocsparseL35gtsv_nopivot_pcr_pow2_shared_kernelILj8E21rocsparse_complex_numIdEEEviiiPKT0_S5_S5_PS3_, .Lfunc_end77-_ZN9rocsparseL35gtsv_nopivot_pcr_pow2_shared_kernelILj8E21rocsparse_complex_numIdEEEviiiPKT0_S5_S5_PS3_
                                        ; -- End function
	.set _ZN9rocsparseL35gtsv_nopivot_pcr_pow2_shared_kernelILj8E21rocsparse_complex_numIdEEEviiiPKT0_S5_S5_PS3_.num_vgpr, 34
	.set _ZN9rocsparseL35gtsv_nopivot_pcr_pow2_shared_kernelILj8E21rocsparse_complex_numIdEEEviiiPKT0_S5_S5_PS3_.num_agpr, 0
	.set _ZN9rocsparseL35gtsv_nopivot_pcr_pow2_shared_kernelILj8E21rocsparse_complex_numIdEEEviiiPKT0_S5_S5_PS3_.numbered_sgpr, 16
	.set _ZN9rocsparseL35gtsv_nopivot_pcr_pow2_shared_kernelILj8E21rocsparse_complex_numIdEEEviiiPKT0_S5_S5_PS3_.num_named_barrier, 0
	.set _ZN9rocsparseL35gtsv_nopivot_pcr_pow2_shared_kernelILj8E21rocsparse_complex_numIdEEEviiiPKT0_S5_S5_PS3_.private_seg_size, 0
	.set _ZN9rocsparseL35gtsv_nopivot_pcr_pow2_shared_kernelILj8E21rocsparse_complex_numIdEEEviiiPKT0_S5_S5_PS3_.uses_vcc, 1
	.set _ZN9rocsparseL35gtsv_nopivot_pcr_pow2_shared_kernelILj8E21rocsparse_complex_numIdEEEviiiPKT0_S5_S5_PS3_.uses_flat_scratch, 0
	.set _ZN9rocsparseL35gtsv_nopivot_pcr_pow2_shared_kernelILj8E21rocsparse_complex_numIdEEEviiiPKT0_S5_S5_PS3_.has_dyn_sized_stack, 0
	.set _ZN9rocsparseL35gtsv_nopivot_pcr_pow2_shared_kernelILj8E21rocsparse_complex_numIdEEEviiiPKT0_S5_S5_PS3_.has_recursion, 0
	.set _ZN9rocsparseL35gtsv_nopivot_pcr_pow2_shared_kernelILj8E21rocsparse_complex_numIdEEEviiiPKT0_S5_S5_PS3_.has_indirect_call, 0
	.section	.AMDGPU.csdata,"",@progbits
; Kernel info:
; codeLenInByte = 2248
; TotalNumSgprs: 20
; NumVgprs: 34
; ScratchSize: 0
; MemoryBound: 0
; FloatMode: 240
; IeeeMode: 1
; LDSByteSize: 720 bytes/workgroup (compile time only)
; SGPRBlocks: 2
; VGPRBlocks: 8
; NumSGPRsForWavesPerEU: 20
; NumVGPRsForWavesPerEU: 34
; Occupancy: 7
; WaveLimiterHint : 0
; COMPUTE_PGM_RSRC2:SCRATCH_EN: 0
; COMPUTE_PGM_RSRC2:USER_SGPR: 6
; COMPUTE_PGM_RSRC2:TRAP_HANDLER: 0
; COMPUTE_PGM_RSRC2:TGID_X_EN: 1
; COMPUTE_PGM_RSRC2:TGID_Y_EN: 0
; COMPUTE_PGM_RSRC2:TGID_Z_EN: 0
; COMPUTE_PGM_RSRC2:TIDIG_COMP_CNT: 0
	.section	.text._ZN9rocsparseL35gtsv_nopivot_pcr_pow2_shared_kernelILj16E21rocsparse_complex_numIdEEEviiiPKT0_S5_S5_PS3_,"axG",@progbits,_ZN9rocsparseL35gtsv_nopivot_pcr_pow2_shared_kernelILj16E21rocsparse_complex_numIdEEEviiiPKT0_S5_S5_PS3_,comdat
	.globl	_ZN9rocsparseL35gtsv_nopivot_pcr_pow2_shared_kernelILj16E21rocsparse_complex_numIdEEEviiiPKT0_S5_S5_PS3_ ; -- Begin function _ZN9rocsparseL35gtsv_nopivot_pcr_pow2_shared_kernelILj16E21rocsparse_complex_numIdEEEviiiPKT0_S5_S5_PS3_
	.p2align	8
	.type	_ZN9rocsparseL35gtsv_nopivot_pcr_pow2_shared_kernelILj16E21rocsparse_complex_numIdEEEviiiPKT0_S5_S5_PS3_,@function
_ZN9rocsparseL35gtsv_nopivot_pcr_pow2_shared_kernelILj16E21rocsparse_complex_numIdEEEviiiPKT0_S5_S5_PS3_: ; @_ZN9rocsparseL35gtsv_nopivot_pcr_pow2_shared_kernelILj16E21rocsparse_complex_numIdEEEviiiPKT0_S5_S5_PS3_
; %bb.0:
	s_load_dword s0, s[4:5], 0x8
	s_load_dwordx8 s[8:15], s[4:5], 0x10
	v_lshlrev_b32_e32 v3, 4, v0
	v_mov_b32_e32 v2, 0
	v_min_u32_e32 v22, 14, v0
	s_waitcnt lgkmcnt(0)
	s_mul_i32 s0, s0, s6
	global_load_dwordx4 v[4:7], v3, s[8:9]
	v_add_u32_e32 v1, s0, v0
	v_lshlrev_b64 v[1:2], 4, v[1:2]
	v_lshlrev_b32_e32 v27, 4, v22
	v_add_co_u32_e32 v1, vcc, s14, v1
	s_waitcnt vmcnt(0)
	ds_write2_b64 v3, v[4:5], v[6:7] offset1:1
	global_load_dwordx4 v[4:7], v3, s[10:11]
	s_waitcnt vmcnt(0)
	ds_write2_b64 v3, v[4:5], v[6:7] offset0:34 offset1:35
	global_load_dwordx4 v[4:7], v3, s[12:13]
	s_waitcnt vmcnt(0)
	ds_write2_b64 v3, v[4:5], v[6:7] offset0:68 offset1:69
	v_mov_b32_e32 v4, s15
	v_addc_co_u32_e32 v2, vcc, v4, v2, vcc
	global_load_dwordx4 v[4:7], v[1:2], off
	s_waitcnt vmcnt(0)
	ds_write2_b64 v3, v[4:5], v[6:7] offset0:136 offset1:137
	v_sub_u32_e64 v4, v0, 1 clamp
	v_lshlrev_b32_e32 v26, 4, v4
	s_waitcnt lgkmcnt(0)
	; wave barrier
	ds_read_b128 v[4:7], v26 offset:272
	ds_read_b128 v[8:11], v3
	s_waitcnt lgkmcnt(1)
	v_mul_f64 v[12:13], v[6:7], v[6:7]
	v_fma_f64 v[12:13], v[4:5], v[4:5], v[12:13]
	v_div_scale_f64 v[14:15], s[0:1], v[12:13], v[12:13], 1.0
	v_rcp_f64_e32 v[16:17], v[14:15]
	v_fma_f64 v[18:19], -v[14:15], v[16:17], 1.0
	v_fma_f64 v[16:17], v[16:17], v[18:19], v[16:17]
	v_fma_f64 v[18:19], -v[14:15], v[16:17], 1.0
	v_fma_f64 v[16:17], v[16:17], v[18:19], v[16:17]
	v_div_scale_f64 v[18:19], vcc, 1.0, v[12:13], 1.0
	v_mul_f64 v[20:21], v[18:19], v[16:17]
	v_fma_f64 v[14:15], -v[14:15], v[20:21], v[18:19]
	s_nop 1
	v_div_fmas_f64 v[14:15], v[14:15], v[16:17], v[20:21]
	v_div_fixup_f64 v[12:13], v[14:15], v[12:13], 1.0
	s_waitcnt lgkmcnt(0)
	v_mul_f64 v[14:15], v[6:7], v[10:11]
	v_mul_f64 v[6:7], v[6:7], -v[8:9]
	v_fma_f64 v[14:15], v[8:9], v[4:5], v[14:15]
	v_fma_f64 v[4:5], v[10:11], v[4:5], v[6:7]
	v_mul_f64 v[18:19], v[12:13], v[14:15]
	v_mul_f64 v[20:21], v[12:13], v[4:5]
	ds_read_b128 v[4:7], v27 offset:288
	ds_read_b128 v[8:11], v3 offset:544
	s_waitcnt lgkmcnt(1)
	v_mul_f64 v[12:13], v[6:7], v[6:7]
	v_fma_f64 v[12:13], v[4:5], v[4:5], v[12:13]
	v_div_scale_f64 v[14:15], s[0:1], v[12:13], v[12:13], 1.0
	v_rcp_f64_e32 v[16:17], v[14:15]
	v_fma_f64 v[22:23], -v[14:15], v[16:17], 1.0
	v_fma_f64 v[16:17], v[16:17], v[22:23], v[16:17]
	v_fma_f64 v[22:23], -v[14:15], v[16:17], 1.0
	v_fma_f64 v[16:17], v[16:17], v[22:23], v[16:17]
	v_div_scale_f64 v[22:23], vcc, 1.0, v[12:13], 1.0
	v_mul_f64 v[24:25], v[22:23], v[16:17]
	v_fma_f64 v[14:15], -v[14:15], v[24:25], v[22:23]
	s_nop 1
	v_div_fmas_f64 v[14:15], v[14:15], v[16:17], v[24:25]
	v_div_fixup_f64 v[12:13], v[14:15], v[12:13], 1.0
	s_waitcnt lgkmcnt(0)
	v_mul_f64 v[14:15], v[6:7], v[10:11]
	v_mul_f64 v[6:7], v[6:7], -v[8:9]
	v_fma_f64 v[14:15], v[8:9], v[4:5], v[14:15]
	v_fma_f64 v[4:5], v[10:11], v[4:5], v[6:7]
	v_mul_f64 v[22:23], v[12:13], v[14:15]
	v_mul_f64 v[24:25], v[12:13], v[4:5]
	ds_read_b128 v[4:7], v26 offset:544
	s_waitcnt lgkmcnt(0)
	v_mul_f64 v[8:9], v[20:21], -v[6:7]
	v_fma_f64 v[8:9], v[4:5], v[18:19], v[8:9]
	v_mul_f64 v[4:5], v[20:21], v[4:5]
	v_fma_f64 v[10:11], v[6:7], v[18:19], v[4:5]
	ds_read_b128 v[4:7], v3 offset:272
	s_waitcnt lgkmcnt(0)
	v_add_f64 v[8:9], v[4:5], -v[8:9]
	v_add_f64 v[10:11], v[6:7], -v[10:11]
	ds_read_b128 v[4:7], v27 offset:16
	s_waitcnt lgkmcnt(0)
	v_mul_f64 v[12:13], v[24:25], -v[6:7]
	v_fma_f64 v[12:13], v[4:5], v[22:23], v[12:13]
	v_mul_f64 v[4:5], v[24:25], v[4:5]
	v_fma_f64 v[6:7], v[6:7], v[22:23], v[4:5]
	v_add_f64 v[4:5], v[8:9], -v[12:13]
	v_add_f64 v[6:7], v[10:11], -v[6:7]
	ds_read_b128 v[8:11], v26 offset:1088
	s_waitcnt lgkmcnt(0)
	v_mul_f64 v[12:13], v[20:21], -v[10:11]
	v_fma_f64 v[12:13], v[8:9], v[18:19], v[12:13]
	v_mul_f64 v[8:9], v[20:21], v[8:9]
	v_fma_f64 v[14:15], v[10:11], v[18:19], v[8:9]
	ds_read_b128 v[8:11], v3 offset:1088
	s_waitcnt lgkmcnt(0)
	v_add_f64 v[12:13], v[8:9], -v[12:13]
	v_add_f64 v[14:15], v[10:11], -v[14:15]
	ds_read_b128 v[8:11], v27 offset:1104
	s_waitcnt lgkmcnt(0)
	v_mul_f64 v[16:17], v[24:25], -v[10:11]
	v_fma_f64 v[16:17], v[8:9], v[22:23], v[16:17]
	v_mul_f64 v[8:9], v[24:25], v[8:9]
	v_fma_f64 v[10:11], v[10:11], v[22:23], v[8:9]
	v_add_f64 v[8:9], v[12:13], -v[16:17]
	v_add_f64 v[10:11], v[14:15], -v[10:11]
	ds_read_b128 v[12:15], v26
	s_waitcnt lgkmcnt(0)
	v_mul_f64 v[16:17], v[20:21], v[14:15]
	v_fma_f64 v[16:17], -v[12:13], v[18:19], v[16:17]
	v_mul_f64 v[12:13], v[20:21], -v[12:13]
	v_fma_f64 v[18:19], -v[14:15], v[18:19], v[12:13]
	ds_read_b128 v[12:15], v27 offset:560
	s_waitcnt lgkmcnt(0)
	; wave barrier
	v_mul_f64 v[20:21], v[24:25], v[14:15]
	v_fma_f64 v[20:21], -v[12:13], v[22:23], v[20:21]
	v_mul_f64 v[12:13], v[24:25], -v[12:13]
	v_fma_f64 v[22:23], -v[14:15], v[22:23], v[12:13]
	ds_write_b128 v3, v[4:7] offset:272
	ds_write_b128 v3, v[8:11] offset:1088
	ds_write_b128 v3, v[16:19]
	ds_write_b128 v3, v[20:23] offset:544
	v_sub_u32_e64 v4, v0, 2 clamp
	v_lshlrev_b32_e32 v26, 4, v4
	s_waitcnt lgkmcnt(0)
	; wave barrier
	ds_read_b128 v[4:7], v26 offset:272
	ds_read_b128 v[8:11], v3
	v_min_u32_e32 v22, 13, v0
	v_lshlrev_b32_e32 v27, 4, v22
	s_waitcnt lgkmcnt(1)
	v_mul_f64 v[12:13], v[6:7], v[6:7]
	v_fma_f64 v[12:13], v[4:5], v[4:5], v[12:13]
	v_div_scale_f64 v[14:15], s[0:1], v[12:13], v[12:13], 1.0
	v_rcp_f64_e32 v[16:17], v[14:15]
	v_fma_f64 v[18:19], -v[14:15], v[16:17], 1.0
	v_fma_f64 v[16:17], v[16:17], v[18:19], v[16:17]
	v_fma_f64 v[18:19], -v[14:15], v[16:17], 1.0
	v_fma_f64 v[16:17], v[16:17], v[18:19], v[16:17]
	v_div_scale_f64 v[18:19], vcc, 1.0, v[12:13], 1.0
	v_mul_f64 v[20:21], v[18:19], v[16:17]
	v_fma_f64 v[14:15], -v[14:15], v[20:21], v[18:19]
	s_nop 1
	v_div_fmas_f64 v[14:15], v[14:15], v[16:17], v[20:21]
	v_div_fixup_f64 v[12:13], v[14:15], v[12:13], 1.0
	s_waitcnt lgkmcnt(0)
	v_mul_f64 v[14:15], v[6:7], v[10:11]
	v_mul_f64 v[6:7], v[6:7], -v[8:9]
	v_fma_f64 v[14:15], v[8:9], v[4:5], v[14:15]
	v_fma_f64 v[4:5], v[10:11], v[4:5], v[6:7]
	v_mul_f64 v[18:19], v[12:13], v[14:15]
	v_mul_f64 v[20:21], v[12:13], v[4:5]
	ds_read_b128 v[4:7], v27 offset:304
	ds_read_b128 v[8:11], v3 offset:544
	s_waitcnt lgkmcnt(1)
	v_mul_f64 v[12:13], v[6:7], v[6:7]
	v_fma_f64 v[12:13], v[4:5], v[4:5], v[12:13]
	v_div_scale_f64 v[14:15], s[0:1], v[12:13], v[12:13], 1.0
	v_rcp_f64_e32 v[16:17], v[14:15]
	v_fma_f64 v[22:23], -v[14:15], v[16:17], 1.0
	v_fma_f64 v[16:17], v[16:17], v[22:23], v[16:17]
	v_fma_f64 v[22:23], -v[14:15], v[16:17], 1.0
	v_fma_f64 v[16:17], v[16:17], v[22:23], v[16:17]
	v_div_scale_f64 v[22:23], vcc, 1.0, v[12:13], 1.0
	v_mul_f64 v[24:25], v[22:23], v[16:17]
	v_fma_f64 v[14:15], -v[14:15], v[24:25], v[22:23]
	s_nop 1
	v_div_fmas_f64 v[14:15], v[14:15], v[16:17], v[24:25]
	v_div_fixup_f64 v[12:13], v[14:15], v[12:13], 1.0
	s_waitcnt lgkmcnt(0)
	v_mul_f64 v[14:15], v[6:7], v[10:11]
	v_mul_f64 v[6:7], v[6:7], -v[8:9]
	v_fma_f64 v[14:15], v[8:9], v[4:5], v[14:15]
	v_fma_f64 v[4:5], v[10:11], v[4:5], v[6:7]
	v_mul_f64 v[22:23], v[12:13], v[14:15]
	v_mul_f64 v[24:25], v[12:13], v[4:5]
	ds_read_b128 v[4:7], v26 offset:544
	s_waitcnt lgkmcnt(0)
	v_mul_f64 v[8:9], v[20:21], -v[6:7]
	v_fma_f64 v[8:9], v[4:5], v[18:19], v[8:9]
	v_mul_f64 v[4:5], v[20:21], v[4:5]
	v_fma_f64 v[10:11], v[6:7], v[18:19], v[4:5]
	ds_read_b128 v[4:7], v3 offset:272
	s_waitcnt lgkmcnt(0)
	v_add_f64 v[8:9], v[4:5], -v[8:9]
	v_add_f64 v[10:11], v[6:7], -v[10:11]
	ds_read_b128 v[4:7], v27 offset:32
	s_waitcnt lgkmcnt(0)
	v_mul_f64 v[12:13], v[24:25], -v[6:7]
	v_fma_f64 v[12:13], v[4:5], v[22:23], v[12:13]
	v_mul_f64 v[4:5], v[24:25], v[4:5]
	v_fma_f64 v[6:7], v[6:7], v[22:23], v[4:5]
	v_add_f64 v[4:5], v[8:9], -v[12:13]
	v_add_f64 v[6:7], v[10:11], -v[6:7]
	ds_read_b128 v[8:11], v26 offset:1088
	s_waitcnt lgkmcnt(0)
	v_mul_f64 v[12:13], v[20:21], -v[10:11]
	v_fma_f64 v[12:13], v[8:9], v[18:19], v[12:13]
	v_mul_f64 v[8:9], v[20:21], v[8:9]
	v_fma_f64 v[14:15], v[10:11], v[18:19], v[8:9]
	ds_read_b128 v[8:11], v3 offset:1088
	s_waitcnt lgkmcnt(0)
	v_add_f64 v[12:13], v[8:9], -v[12:13]
	v_add_f64 v[14:15], v[10:11], -v[14:15]
	ds_read_b128 v[8:11], v27 offset:1120
	s_waitcnt lgkmcnt(0)
	v_mul_f64 v[16:17], v[24:25], -v[10:11]
	v_fma_f64 v[16:17], v[8:9], v[22:23], v[16:17]
	v_mul_f64 v[8:9], v[24:25], v[8:9]
	v_fma_f64 v[10:11], v[10:11], v[22:23], v[8:9]
	v_add_f64 v[8:9], v[12:13], -v[16:17]
	v_add_f64 v[10:11], v[14:15], -v[10:11]
	ds_read_b128 v[12:15], v26
	s_waitcnt lgkmcnt(0)
	v_mul_f64 v[16:17], v[20:21], v[14:15]
	v_fma_f64 v[16:17], -v[12:13], v[18:19], v[16:17]
	v_mul_f64 v[12:13], v[20:21], -v[12:13]
	v_fma_f64 v[18:19], -v[14:15], v[18:19], v[12:13]
	ds_read_b128 v[12:15], v27 offset:576
	s_waitcnt lgkmcnt(0)
	; wave barrier
	v_mul_f64 v[20:21], v[24:25], v[14:15]
	v_fma_f64 v[20:21], -v[12:13], v[22:23], v[20:21]
	v_mul_f64 v[12:13], v[24:25], -v[12:13]
	v_fma_f64 v[22:23], -v[14:15], v[22:23], v[12:13]
	ds_write_b128 v3, v[4:7] offset:272
	ds_write_b128 v3, v[8:11] offset:1088
	ds_write_b128 v3, v[16:19]
	ds_write_b128 v3, v[20:23] offset:544
	v_sub_u32_e64 v4, v0, 4 clamp
	v_lshlrev_b32_e32 v26, 4, v4
	s_waitcnt lgkmcnt(0)
	; wave barrier
	ds_read_b128 v[4:7], v26 offset:272
	ds_read_b128 v[8:11], v3
	v_min_u32_e32 v22, 11, v0
	v_lshlrev_b32_e32 v27, 4, v22
	s_waitcnt lgkmcnt(1)
	v_mul_f64 v[12:13], v[6:7], v[6:7]
	v_fma_f64 v[12:13], v[4:5], v[4:5], v[12:13]
	v_div_scale_f64 v[14:15], s[0:1], v[12:13], v[12:13], 1.0
	v_rcp_f64_e32 v[16:17], v[14:15]
	v_fma_f64 v[18:19], -v[14:15], v[16:17], 1.0
	v_fma_f64 v[16:17], v[16:17], v[18:19], v[16:17]
	v_fma_f64 v[18:19], -v[14:15], v[16:17], 1.0
	v_fma_f64 v[16:17], v[16:17], v[18:19], v[16:17]
	v_div_scale_f64 v[18:19], vcc, 1.0, v[12:13], 1.0
	v_mul_f64 v[20:21], v[18:19], v[16:17]
	v_fma_f64 v[14:15], -v[14:15], v[20:21], v[18:19]
	s_nop 1
	v_div_fmas_f64 v[14:15], v[14:15], v[16:17], v[20:21]
	v_div_fixup_f64 v[12:13], v[14:15], v[12:13], 1.0
	s_waitcnt lgkmcnt(0)
	v_mul_f64 v[14:15], v[6:7], v[10:11]
	v_mul_f64 v[6:7], v[6:7], -v[8:9]
	v_fma_f64 v[14:15], v[8:9], v[4:5], v[14:15]
	v_fma_f64 v[4:5], v[10:11], v[4:5], v[6:7]
	v_mul_f64 v[18:19], v[12:13], v[14:15]
	v_mul_f64 v[20:21], v[12:13], v[4:5]
	ds_read_b128 v[4:7], v27 offset:336
	ds_read_b128 v[8:11], v3 offset:544
	s_waitcnt lgkmcnt(1)
	v_mul_f64 v[12:13], v[6:7], v[6:7]
	v_fma_f64 v[12:13], v[4:5], v[4:5], v[12:13]
	v_div_scale_f64 v[14:15], s[0:1], v[12:13], v[12:13], 1.0
	v_rcp_f64_e32 v[16:17], v[14:15]
	v_fma_f64 v[22:23], -v[14:15], v[16:17], 1.0
	v_fma_f64 v[16:17], v[16:17], v[22:23], v[16:17]
	v_fma_f64 v[22:23], -v[14:15], v[16:17], 1.0
	v_fma_f64 v[16:17], v[16:17], v[22:23], v[16:17]
	v_div_scale_f64 v[22:23], vcc, 1.0, v[12:13], 1.0
	v_mul_f64 v[24:25], v[22:23], v[16:17]
	v_fma_f64 v[14:15], -v[14:15], v[24:25], v[22:23]
	s_nop 1
	v_div_fmas_f64 v[14:15], v[14:15], v[16:17], v[24:25]
	v_cmp_gt_u32_e32 vcc, 8, v0
	v_div_fixup_f64 v[12:13], v[14:15], v[12:13], 1.0
	s_waitcnt lgkmcnt(0)
	v_mul_f64 v[14:15], v[6:7], v[10:11]
	v_mul_f64 v[6:7], v[6:7], -v[8:9]
	v_fma_f64 v[14:15], v[8:9], v[4:5], v[14:15]
	v_fma_f64 v[4:5], v[10:11], v[4:5], v[6:7]
	v_mul_f64 v[22:23], v[12:13], v[14:15]
	v_mul_f64 v[24:25], v[12:13], v[4:5]
	ds_read_b128 v[4:7], v26 offset:544
	s_waitcnt lgkmcnt(0)
	v_mul_f64 v[8:9], v[20:21], -v[6:7]
	v_fma_f64 v[8:9], v[4:5], v[18:19], v[8:9]
	v_mul_f64 v[4:5], v[20:21], v[4:5]
	v_fma_f64 v[10:11], v[6:7], v[18:19], v[4:5]
	ds_read_b128 v[4:7], v3 offset:272
	s_waitcnt lgkmcnt(0)
	v_add_f64 v[8:9], v[4:5], -v[8:9]
	v_add_f64 v[10:11], v[6:7], -v[10:11]
	ds_read_b128 v[4:7], v27 offset:64
	s_waitcnt lgkmcnt(0)
	v_mul_f64 v[12:13], v[24:25], -v[6:7]
	v_fma_f64 v[12:13], v[4:5], v[22:23], v[12:13]
	v_mul_f64 v[4:5], v[24:25], v[4:5]
	v_fma_f64 v[6:7], v[6:7], v[22:23], v[4:5]
	v_add_f64 v[4:5], v[8:9], -v[12:13]
	v_add_f64 v[6:7], v[10:11], -v[6:7]
	ds_read_b128 v[8:11], v26 offset:1088
	s_waitcnt lgkmcnt(0)
	v_mul_f64 v[12:13], v[20:21], -v[10:11]
	v_fma_f64 v[12:13], v[8:9], v[18:19], v[12:13]
	v_mul_f64 v[8:9], v[20:21], v[8:9]
	v_fma_f64 v[14:15], v[10:11], v[18:19], v[8:9]
	ds_read_b128 v[8:11], v3 offset:1088
	s_waitcnt lgkmcnt(0)
	v_add_f64 v[12:13], v[8:9], -v[12:13]
	v_add_f64 v[14:15], v[10:11], -v[14:15]
	ds_read_b128 v[8:11], v27 offset:1152
	s_waitcnt lgkmcnt(0)
	v_mul_f64 v[16:17], v[24:25], -v[10:11]
	v_fma_f64 v[16:17], v[8:9], v[22:23], v[16:17]
	v_mul_f64 v[8:9], v[24:25], v[8:9]
	v_fma_f64 v[10:11], v[10:11], v[22:23], v[8:9]
	v_add_f64 v[8:9], v[12:13], -v[16:17]
	v_add_f64 v[10:11], v[14:15], -v[10:11]
	ds_read_b128 v[12:15], v26
	s_waitcnt lgkmcnt(0)
	v_mul_f64 v[16:17], v[20:21], v[14:15]
	v_fma_f64 v[16:17], -v[12:13], v[18:19], v[16:17]
	v_mul_f64 v[12:13], v[20:21], -v[12:13]
	v_fma_f64 v[18:19], -v[14:15], v[18:19], v[12:13]
	ds_read_b128 v[12:15], v27 offset:608
	s_waitcnt lgkmcnt(0)
	; wave barrier
	v_mul_f64 v[20:21], v[24:25], v[14:15]
	v_fma_f64 v[20:21], -v[12:13], v[22:23], v[20:21]
	v_mul_f64 v[12:13], v[24:25], -v[12:13]
	v_fma_f64 v[22:23], -v[14:15], v[22:23], v[12:13]
	ds_write_b128 v3, v[4:7] offset:272
	ds_write_b128 v3, v[8:11] offset:1088
	ds_write_b128 v3, v[16:19]
	ds_write_b128 v3, v[20:23] offset:544
	s_waitcnt lgkmcnt(0)
	; wave barrier
	s_and_saveexec_b64 s[0:1], vcc
	s_cbranch_execz .LBB78_2
; %bb.1:
	v_add_u32_e32 v0, 0x110, v3
	ds_read_b128 v[4:7], v0
	ds_read_b128 v[8:11], v0 offset:128
	v_add_u32_e32 v0, 0x440, v3
	ds_read_b128 v[12:15], v0 offset:128
	v_add_u32_e32 v16, 0x220, v3
	ds_read_b128 v[16:19], v16
	ds_read_b128 v[20:23], v3 offset:128
	s_waitcnt lgkmcnt(3)
	v_mul_f64 v[28:29], v[6:7], -v[10:11]
	v_mul_f64 v[30:31], v[6:7], v[8:9]
	s_waitcnt lgkmcnt(2)
	v_mul_f64 v[32:33], v[6:7], -v[14:15]
	v_mul_f64 v[6:7], v[6:7], v[12:13]
	ds_read_b128 v[24:27], v0
	v_fma_f64 v[28:29], v[8:9], v[4:5], v[28:29]
	v_fma_f64 v[30:31], v[10:11], v[4:5], v[30:31]
	;; [unrolled: 1-line block ×4, first 2 shown]
	s_waitcnt lgkmcnt(2)
	v_mul_f64 v[6:7], v[14:15], -v[18:19]
	v_mul_f64 v[14:15], v[16:17], v[14:15]
	v_fma_f64 v[6:7], v[16:17], v[12:13], v[6:7]
	v_fma_f64 v[12:13], v[18:19], v[12:13], v[14:15]
	s_waitcnt lgkmcnt(1)
	v_mul_f64 v[14:15], v[22:23], v[16:17]
	v_fma_f64 v[14:15], v[18:19], v[20:21], v[14:15]
	v_mul_f64 v[18:19], v[22:23], -v[18:19]
	v_add_f64 v[14:15], v[30:31], -v[14:15]
	v_fma_f64 v[16:17], v[16:17], v[20:21], v[18:19]
	s_waitcnt lgkmcnt(0)
	v_mul_f64 v[18:19], v[26:27], -v[10:11]
	v_mul_f64 v[30:31], v[8:9], v[26:27]
	v_add_f64 v[16:17], v[28:29], -v[16:17]
	v_mul_f64 v[28:29], v[14:15], v[14:15]
	v_fma_f64 v[8:9], v[8:9], v[24:25], v[18:19]
	v_mul_f64 v[18:19], v[22:23], -v[26:27]
	v_mul_f64 v[22:23], v[22:23], v[24:25]
	v_fma_f64 v[10:11], v[10:11], v[24:25], v[30:31]
	v_fma_f64 v[28:29], v[16:17], v[16:17], v[28:29]
	v_add_f64 v[6:7], v[8:9], -v[6:7]
	v_fma_f64 v[18:19], v[24:25], v[20:21], v[18:19]
	v_fma_f64 v[20:21], v[26:27], v[20:21], v[22:23]
	v_add_f64 v[10:11], v[10:11], -v[12:13]
	v_fma_f64 v[12:13], v[14:15], 0, v[16:17]
	v_div_scale_f64 v[22:23], s[2:3], v[28:29], v[28:29], 1.0
	v_add_f64 v[8:9], v[32:33], -v[18:19]
	v_rcp_f64_e32 v[24:25], v[22:23]
	v_fma_f64 v[26:27], -v[22:23], v[24:25], 1.0
	v_fma_f64 v[24:25], v[24:25], v[26:27], v[24:25]
	v_div_scale_f64 v[26:27], vcc, 1.0, v[28:29], 1.0
	v_fma_f64 v[30:31], -v[22:23], v[24:25], 1.0
	v_fma_f64 v[24:25], v[24:25], v[30:31], v[24:25]
	v_mul_f64 v[30:31], v[26:27], v[24:25]
	v_fma_f64 v[22:23], -v[22:23], v[30:31], v[26:27]
	v_div_fmas_f64 v[22:23], v[22:23], v[24:25], v[30:31]
	v_fma_f64 v[24:25], v[16:17], 0, -v[14:15]
	v_add_f64 v[16:17], v[4:5], -v[20:21]
	v_div_fixup_f64 v[22:23], v[22:23], v[28:29], 1.0
	v_mul_f64 v[14:15], v[24:25], v[22:23]
	v_mul_f64 v[12:13], v[12:13], v[22:23]
	v_mul_f64 v[4:5], v[14:15], -v[10:11]
	v_mul_f64 v[18:19], v[14:15], v[6:7]
	v_mul_f64 v[20:21], v[14:15], -v[16:17]
	v_mul_f64 v[14:15], v[14:15], v[8:9]
	v_fma_f64 v[4:5], v[6:7], v[12:13], v[4:5]
	v_fma_f64 v[6:7], v[10:11], v[12:13], v[18:19]
	;; [unrolled: 1-line block ×4, first 2 shown]
	ds_write_b128 v3, v[4:7] offset:816
	ds_write_b128 v3, v[8:11] offset:944
.LBB78_2:
	s_or_b64 exec, exec, s[0:1]
	s_waitcnt lgkmcnt(0)
	; wave barrier
	ds_read2_b64 v[3:6], v3 offset0:102 offset1:103
	s_waitcnt lgkmcnt(0)
	global_store_dwordx4 v[1:2], v[3:6], off
	s_endpgm
	.section	.rodata,"a",@progbits
	.p2align	6, 0x0
	.amdhsa_kernel _ZN9rocsparseL35gtsv_nopivot_pcr_pow2_shared_kernelILj16E21rocsparse_complex_numIdEEEviiiPKT0_S5_S5_PS3_
		.amdhsa_group_segment_fixed_size 1360
		.amdhsa_private_segment_fixed_size 0
		.amdhsa_kernarg_size 48
		.amdhsa_user_sgpr_count 6
		.amdhsa_user_sgpr_private_segment_buffer 1
		.amdhsa_user_sgpr_dispatch_ptr 0
		.amdhsa_user_sgpr_queue_ptr 0
		.amdhsa_user_sgpr_kernarg_segment_ptr 1
		.amdhsa_user_sgpr_dispatch_id 0
		.amdhsa_user_sgpr_flat_scratch_init 0
		.amdhsa_user_sgpr_private_segment_size 0
		.amdhsa_uses_dynamic_stack 0
		.amdhsa_system_sgpr_private_segment_wavefront_offset 0
		.amdhsa_system_sgpr_workgroup_id_x 1
		.amdhsa_system_sgpr_workgroup_id_y 0
		.amdhsa_system_sgpr_workgroup_id_z 0
		.amdhsa_system_sgpr_workgroup_info 0
		.amdhsa_system_vgpr_workitem_id 0
		.amdhsa_next_free_vgpr 34
		.amdhsa_next_free_sgpr 16
		.amdhsa_reserve_vcc 1
		.amdhsa_reserve_flat_scratch 0
		.amdhsa_float_round_mode_32 0
		.amdhsa_float_round_mode_16_64 0
		.amdhsa_float_denorm_mode_32 3
		.amdhsa_float_denorm_mode_16_64 3
		.amdhsa_dx10_clamp 1
		.amdhsa_ieee_mode 1
		.amdhsa_fp16_overflow 0
		.amdhsa_exception_fp_ieee_invalid_op 0
		.amdhsa_exception_fp_denorm_src 0
		.amdhsa_exception_fp_ieee_div_zero 0
		.amdhsa_exception_fp_ieee_overflow 0
		.amdhsa_exception_fp_ieee_underflow 0
		.amdhsa_exception_fp_ieee_inexact 0
		.amdhsa_exception_int_div_zero 0
	.end_amdhsa_kernel
	.section	.text._ZN9rocsparseL35gtsv_nopivot_pcr_pow2_shared_kernelILj16E21rocsparse_complex_numIdEEEviiiPKT0_S5_S5_PS3_,"axG",@progbits,_ZN9rocsparseL35gtsv_nopivot_pcr_pow2_shared_kernelILj16E21rocsparse_complex_numIdEEEviiiPKT0_S5_S5_PS3_,comdat
.Lfunc_end78:
	.size	_ZN9rocsparseL35gtsv_nopivot_pcr_pow2_shared_kernelILj16E21rocsparse_complex_numIdEEEviiiPKT0_S5_S5_PS3_, .Lfunc_end78-_ZN9rocsparseL35gtsv_nopivot_pcr_pow2_shared_kernelILj16E21rocsparse_complex_numIdEEEviiiPKT0_S5_S5_PS3_
                                        ; -- End function
	.set _ZN9rocsparseL35gtsv_nopivot_pcr_pow2_shared_kernelILj16E21rocsparse_complex_numIdEEEviiiPKT0_S5_S5_PS3_.num_vgpr, 34
	.set _ZN9rocsparseL35gtsv_nopivot_pcr_pow2_shared_kernelILj16E21rocsparse_complex_numIdEEEviiiPKT0_S5_S5_PS3_.num_agpr, 0
	.set _ZN9rocsparseL35gtsv_nopivot_pcr_pow2_shared_kernelILj16E21rocsparse_complex_numIdEEEviiiPKT0_S5_S5_PS3_.numbered_sgpr, 16
	.set _ZN9rocsparseL35gtsv_nopivot_pcr_pow2_shared_kernelILj16E21rocsparse_complex_numIdEEEviiiPKT0_S5_S5_PS3_.num_named_barrier, 0
	.set _ZN9rocsparseL35gtsv_nopivot_pcr_pow2_shared_kernelILj16E21rocsparse_complex_numIdEEEviiiPKT0_S5_S5_PS3_.private_seg_size, 0
	.set _ZN9rocsparseL35gtsv_nopivot_pcr_pow2_shared_kernelILj16E21rocsparse_complex_numIdEEEviiiPKT0_S5_S5_PS3_.uses_vcc, 1
	.set _ZN9rocsparseL35gtsv_nopivot_pcr_pow2_shared_kernelILj16E21rocsparse_complex_numIdEEEviiiPKT0_S5_S5_PS3_.uses_flat_scratch, 0
	.set _ZN9rocsparseL35gtsv_nopivot_pcr_pow2_shared_kernelILj16E21rocsparse_complex_numIdEEEviiiPKT0_S5_S5_PS3_.has_dyn_sized_stack, 0
	.set _ZN9rocsparseL35gtsv_nopivot_pcr_pow2_shared_kernelILj16E21rocsparse_complex_numIdEEEviiiPKT0_S5_S5_PS3_.has_recursion, 0
	.set _ZN9rocsparseL35gtsv_nopivot_pcr_pow2_shared_kernelILj16E21rocsparse_complex_numIdEEEviiiPKT0_S5_S5_PS3_.has_indirect_call, 0
	.section	.AMDGPU.csdata,"",@progbits
; Kernel info:
; codeLenInByte = 3008
; TotalNumSgprs: 20
; NumVgprs: 34
; ScratchSize: 0
; MemoryBound: 0
; FloatMode: 240
; IeeeMode: 1
; LDSByteSize: 1360 bytes/workgroup (compile time only)
; SGPRBlocks: 2
; VGPRBlocks: 8
; NumSGPRsForWavesPerEU: 20
; NumVGPRsForWavesPerEU: 34
; Occupancy: 7
; WaveLimiterHint : 0
; COMPUTE_PGM_RSRC2:SCRATCH_EN: 0
; COMPUTE_PGM_RSRC2:USER_SGPR: 6
; COMPUTE_PGM_RSRC2:TRAP_HANDLER: 0
; COMPUTE_PGM_RSRC2:TGID_X_EN: 1
; COMPUTE_PGM_RSRC2:TGID_Y_EN: 0
; COMPUTE_PGM_RSRC2:TGID_Z_EN: 0
; COMPUTE_PGM_RSRC2:TIDIG_COMP_CNT: 0
	.section	.text._ZN9rocsparseL35gtsv_nopivot_pcr_pow2_shared_kernelILj32E21rocsparse_complex_numIdEEEviiiPKT0_S5_S5_PS3_,"axG",@progbits,_ZN9rocsparseL35gtsv_nopivot_pcr_pow2_shared_kernelILj32E21rocsparse_complex_numIdEEEviiiPKT0_S5_S5_PS3_,comdat
	.globl	_ZN9rocsparseL35gtsv_nopivot_pcr_pow2_shared_kernelILj32E21rocsparse_complex_numIdEEEviiiPKT0_S5_S5_PS3_ ; -- Begin function _ZN9rocsparseL35gtsv_nopivot_pcr_pow2_shared_kernelILj32E21rocsparse_complex_numIdEEEviiiPKT0_S5_S5_PS3_
	.p2align	8
	.type	_ZN9rocsparseL35gtsv_nopivot_pcr_pow2_shared_kernelILj32E21rocsparse_complex_numIdEEEviiiPKT0_S5_S5_PS3_,@function
_ZN9rocsparseL35gtsv_nopivot_pcr_pow2_shared_kernelILj32E21rocsparse_complex_numIdEEEviiiPKT0_S5_S5_PS3_: ; @_ZN9rocsparseL35gtsv_nopivot_pcr_pow2_shared_kernelILj32E21rocsparse_complex_numIdEEEviiiPKT0_S5_S5_PS3_
; %bb.0:
	s_load_dword s0, s[4:5], 0x8
	s_load_dwordx8 s[8:15], s[4:5], 0x10
	v_lshlrev_b32_e32 v3, 4, v0
	v_mov_b32_e32 v2, 0
	v_min_u32_e32 v23, 30, v0
	s_waitcnt lgkmcnt(0)
	s_mul_i32 s0, s0, s6
	global_load_dwordx4 v[4:7], v3, s[8:9]
	v_add_u32_e32 v1, s0, v0
	v_lshlrev_b64 v[1:2], 4, v[1:2]
	v_lshlrev_b32_e32 v28, 4, v23
	v_add_co_u32_e32 v1, vcc, s14, v1
	s_waitcnt vmcnt(0)
	ds_write2_b64 v3, v[4:5], v[6:7] offset1:1
	global_load_dwordx4 v[4:7], v3, s[10:11]
	s_waitcnt vmcnt(0)
	ds_write2_b64 v3, v[4:5], v[6:7] offset0:66 offset1:67
	global_load_dwordx4 v[4:7], v3, s[12:13]
	s_waitcnt vmcnt(0)
	ds_write2_b64 v3, v[4:5], v[6:7] offset0:132 offset1:133
	v_mov_b32_e32 v4, s15
	v_addc_co_u32_e32 v2, vcc, v4, v2, vcc
	global_load_dwordx4 v[5:8], v[1:2], off
	v_add_u32_e32 v4, 0x840, v3
	s_waitcnt vmcnt(0)
	ds_write2_b64 v4, v[5:6], v[7:8] offset1:1
	v_sub_u32_e64 v5, v0, 1 clamp
	v_lshlrev_b32_e32 v27, 4, v5
	s_waitcnt lgkmcnt(0)
	; wave barrier
	ds_read_b128 v[5:8], v27 offset:528
	ds_read_b128 v[9:12], v3
	s_waitcnt lgkmcnt(1)
	v_mul_f64 v[13:14], v[7:8], v[7:8]
	v_fma_f64 v[13:14], v[5:6], v[5:6], v[13:14]
	v_div_scale_f64 v[15:16], s[0:1], v[13:14], v[13:14], 1.0
	v_rcp_f64_e32 v[17:18], v[15:16]
	v_fma_f64 v[19:20], -v[15:16], v[17:18], 1.0
	v_fma_f64 v[17:18], v[17:18], v[19:20], v[17:18]
	v_fma_f64 v[19:20], -v[15:16], v[17:18], 1.0
	v_fma_f64 v[17:18], v[17:18], v[19:20], v[17:18]
	v_div_scale_f64 v[19:20], vcc, 1.0, v[13:14], 1.0
	v_mul_f64 v[21:22], v[19:20], v[17:18]
	v_fma_f64 v[15:16], -v[15:16], v[21:22], v[19:20]
	s_nop 1
	v_div_fmas_f64 v[15:16], v[15:16], v[17:18], v[21:22]
	v_div_fixup_f64 v[13:14], v[15:16], v[13:14], 1.0
	s_waitcnt lgkmcnt(0)
	v_mul_f64 v[15:16], v[7:8], v[11:12]
	v_mul_f64 v[7:8], v[7:8], -v[9:10]
	v_fma_f64 v[15:16], v[9:10], v[5:6], v[15:16]
	v_fma_f64 v[5:6], v[11:12], v[5:6], v[7:8]
	v_mul_f64 v[19:20], v[13:14], v[15:16]
	v_mul_f64 v[21:22], v[13:14], v[5:6]
	ds_read_b128 v[5:8], v28 offset:544
	ds_read_b128 v[9:12], v3 offset:1056
	s_waitcnt lgkmcnt(1)
	v_mul_f64 v[13:14], v[7:8], v[7:8]
	v_fma_f64 v[13:14], v[5:6], v[5:6], v[13:14]
	v_div_scale_f64 v[15:16], s[0:1], v[13:14], v[13:14], 1.0
	v_rcp_f64_e32 v[17:18], v[15:16]
	v_fma_f64 v[23:24], -v[15:16], v[17:18], 1.0
	v_fma_f64 v[17:18], v[17:18], v[23:24], v[17:18]
	v_fma_f64 v[23:24], -v[15:16], v[17:18], 1.0
	v_fma_f64 v[17:18], v[17:18], v[23:24], v[17:18]
	v_div_scale_f64 v[23:24], vcc, 1.0, v[13:14], 1.0
	v_mul_f64 v[25:26], v[23:24], v[17:18]
	v_fma_f64 v[15:16], -v[15:16], v[25:26], v[23:24]
	s_nop 1
	v_div_fmas_f64 v[15:16], v[15:16], v[17:18], v[25:26]
	v_div_fixup_f64 v[13:14], v[15:16], v[13:14], 1.0
	s_waitcnt lgkmcnt(0)
	v_mul_f64 v[15:16], v[7:8], v[11:12]
	v_mul_f64 v[7:8], v[7:8], -v[9:10]
	v_fma_f64 v[15:16], v[9:10], v[5:6], v[15:16]
	v_fma_f64 v[5:6], v[11:12], v[5:6], v[7:8]
	v_mul_f64 v[23:24], v[13:14], v[15:16]
	v_mul_f64 v[25:26], v[13:14], v[5:6]
	ds_read_b128 v[5:8], v27 offset:1056
	s_waitcnt lgkmcnt(0)
	v_mul_f64 v[9:10], v[21:22], -v[7:8]
	v_fma_f64 v[9:10], v[5:6], v[19:20], v[9:10]
	v_mul_f64 v[5:6], v[21:22], v[5:6]
	v_fma_f64 v[11:12], v[7:8], v[19:20], v[5:6]
	ds_read_b128 v[5:8], v3 offset:528
	s_waitcnt lgkmcnt(0)
	v_add_f64 v[9:10], v[5:6], -v[9:10]
	v_add_f64 v[11:12], v[7:8], -v[11:12]
	ds_read_b128 v[5:8], v28 offset:16
	s_waitcnt lgkmcnt(0)
	v_mul_f64 v[13:14], v[25:26], -v[7:8]
	v_fma_f64 v[13:14], v[5:6], v[23:24], v[13:14]
	v_mul_f64 v[5:6], v[25:26], v[5:6]
	v_fma_f64 v[7:8], v[7:8], v[23:24], v[5:6]
	v_add_f64 v[5:6], v[9:10], -v[13:14]
	v_add_f64 v[7:8], v[11:12], -v[7:8]
	ds_read_b128 v[9:12], v27 offset:2112
	s_waitcnt lgkmcnt(0)
	v_mul_f64 v[13:14], v[21:22], -v[11:12]
	v_fma_f64 v[13:14], v[9:10], v[19:20], v[13:14]
	v_mul_f64 v[9:10], v[21:22], v[9:10]
	v_fma_f64 v[15:16], v[11:12], v[19:20], v[9:10]
	ds_read_b128 v[9:12], v3 offset:2112
	s_waitcnt lgkmcnt(0)
	v_add_f64 v[13:14], v[9:10], -v[13:14]
	v_add_f64 v[15:16], v[11:12], -v[15:16]
	ds_read_b128 v[9:12], v28 offset:2128
	s_waitcnt lgkmcnt(0)
	v_mul_f64 v[17:18], v[25:26], -v[11:12]
	v_fma_f64 v[17:18], v[9:10], v[23:24], v[17:18]
	v_mul_f64 v[9:10], v[25:26], v[9:10]
	v_fma_f64 v[11:12], v[11:12], v[23:24], v[9:10]
	v_add_f64 v[9:10], v[13:14], -v[17:18]
	v_add_f64 v[11:12], v[15:16], -v[11:12]
	ds_read_b128 v[13:16], v27
	s_waitcnt lgkmcnt(0)
	v_mul_f64 v[17:18], v[21:22], v[15:16]
	v_fma_f64 v[17:18], -v[13:14], v[19:20], v[17:18]
	v_mul_f64 v[13:14], v[21:22], -v[13:14]
	v_fma_f64 v[19:20], -v[15:16], v[19:20], v[13:14]
	ds_read_b128 v[13:16], v28 offset:1072
	s_waitcnt lgkmcnt(0)
	; wave barrier
	v_mul_f64 v[21:22], v[25:26], v[15:16]
	v_fma_f64 v[21:22], -v[13:14], v[23:24], v[21:22]
	v_mul_f64 v[13:14], v[25:26], -v[13:14]
	v_fma_f64 v[23:24], -v[15:16], v[23:24], v[13:14]
	ds_write_b128 v3, v[5:8] offset:528
	ds_write_b128 v3, v[9:12] offset:2112
	ds_write_b128 v3, v[17:20]
	ds_write_b128 v3, v[21:24] offset:1056
	v_sub_u32_e64 v5, v0, 2 clamp
	v_lshlrev_b32_e32 v27, 4, v5
	s_waitcnt lgkmcnt(0)
	; wave barrier
	ds_read_b128 v[5:8], v27 offset:528
	ds_read_b128 v[9:12], v3
	v_min_u32_e32 v23, 29, v0
	v_lshlrev_b32_e32 v28, 4, v23
	s_waitcnt lgkmcnt(1)
	v_mul_f64 v[13:14], v[7:8], v[7:8]
	v_fma_f64 v[13:14], v[5:6], v[5:6], v[13:14]
	v_div_scale_f64 v[15:16], s[0:1], v[13:14], v[13:14], 1.0
	v_rcp_f64_e32 v[17:18], v[15:16]
	v_fma_f64 v[19:20], -v[15:16], v[17:18], 1.0
	v_fma_f64 v[17:18], v[17:18], v[19:20], v[17:18]
	v_fma_f64 v[19:20], -v[15:16], v[17:18], 1.0
	v_fma_f64 v[17:18], v[17:18], v[19:20], v[17:18]
	v_div_scale_f64 v[19:20], vcc, 1.0, v[13:14], 1.0
	v_mul_f64 v[21:22], v[19:20], v[17:18]
	v_fma_f64 v[15:16], -v[15:16], v[21:22], v[19:20]
	s_nop 1
	v_div_fmas_f64 v[15:16], v[15:16], v[17:18], v[21:22]
	v_div_fixup_f64 v[13:14], v[15:16], v[13:14], 1.0
	s_waitcnt lgkmcnt(0)
	v_mul_f64 v[15:16], v[7:8], v[11:12]
	v_mul_f64 v[7:8], v[7:8], -v[9:10]
	v_fma_f64 v[15:16], v[9:10], v[5:6], v[15:16]
	v_fma_f64 v[5:6], v[11:12], v[5:6], v[7:8]
	v_mul_f64 v[19:20], v[13:14], v[15:16]
	v_mul_f64 v[21:22], v[13:14], v[5:6]
	ds_read_b128 v[5:8], v28 offset:560
	ds_read_b128 v[9:12], v3 offset:1056
	s_waitcnt lgkmcnt(1)
	v_mul_f64 v[13:14], v[7:8], v[7:8]
	v_fma_f64 v[13:14], v[5:6], v[5:6], v[13:14]
	v_div_scale_f64 v[15:16], s[0:1], v[13:14], v[13:14], 1.0
	v_rcp_f64_e32 v[17:18], v[15:16]
	v_fma_f64 v[23:24], -v[15:16], v[17:18], 1.0
	v_fma_f64 v[17:18], v[17:18], v[23:24], v[17:18]
	v_fma_f64 v[23:24], -v[15:16], v[17:18], 1.0
	v_fma_f64 v[17:18], v[17:18], v[23:24], v[17:18]
	v_div_scale_f64 v[23:24], vcc, 1.0, v[13:14], 1.0
	v_mul_f64 v[25:26], v[23:24], v[17:18]
	v_fma_f64 v[15:16], -v[15:16], v[25:26], v[23:24]
	s_nop 1
	v_div_fmas_f64 v[15:16], v[15:16], v[17:18], v[25:26]
	v_div_fixup_f64 v[13:14], v[15:16], v[13:14], 1.0
	s_waitcnt lgkmcnt(0)
	v_mul_f64 v[15:16], v[7:8], v[11:12]
	v_mul_f64 v[7:8], v[7:8], -v[9:10]
	v_fma_f64 v[15:16], v[9:10], v[5:6], v[15:16]
	v_fma_f64 v[5:6], v[11:12], v[5:6], v[7:8]
	v_mul_f64 v[23:24], v[13:14], v[15:16]
	v_mul_f64 v[25:26], v[13:14], v[5:6]
	ds_read_b128 v[5:8], v27 offset:1056
	s_waitcnt lgkmcnt(0)
	v_mul_f64 v[9:10], v[21:22], -v[7:8]
	v_fma_f64 v[9:10], v[5:6], v[19:20], v[9:10]
	v_mul_f64 v[5:6], v[21:22], v[5:6]
	v_fma_f64 v[11:12], v[7:8], v[19:20], v[5:6]
	ds_read_b128 v[5:8], v3 offset:528
	s_waitcnt lgkmcnt(0)
	v_add_f64 v[9:10], v[5:6], -v[9:10]
	v_add_f64 v[11:12], v[7:8], -v[11:12]
	ds_read_b128 v[5:8], v28 offset:32
	s_waitcnt lgkmcnt(0)
	v_mul_f64 v[13:14], v[25:26], -v[7:8]
	v_fma_f64 v[13:14], v[5:6], v[23:24], v[13:14]
	v_mul_f64 v[5:6], v[25:26], v[5:6]
	v_fma_f64 v[7:8], v[7:8], v[23:24], v[5:6]
	v_add_f64 v[5:6], v[9:10], -v[13:14]
	v_add_f64 v[7:8], v[11:12], -v[7:8]
	ds_read_b128 v[9:12], v27 offset:2112
	s_waitcnt lgkmcnt(0)
	v_mul_f64 v[13:14], v[21:22], -v[11:12]
	v_fma_f64 v[13:14], v[9:10], v[19:20], v[13:14]
	v_mul_f64 v[9:10], v[21:22], v[9:10]
	v_fma_f64 v[15:16], v[11:12], v[19:20], v[9:10]
	ds_read_b128 v[9:12], v3 offset:2112
	s_waitcnt lgkmcnt(0)
	v_add_f64 v[13:14], v[9:10], -v[13:14]
	v_add_f64 v[15:16], v[11:12], -v[15:16]
	ds_read_b128 v[9:12], v28 offset:2144
	s_waitcnt lgkmcnt(0)
	v_mul_f64 v[17:18], v[25:26], -v[11:12]
	v_fma_f64 v[17:18], v[9:10], v[23:24], v[17:18]
	v_mul_f64 v[9:10], v[25:26], v[9:10]
	v_fma_f64 v[11:12], v[11:12], v[23:24], v[9:10]
	v_add_f64 v[9:10], v[13:14], -v[17:18]
	v_add_f64 v[11:12], v[15:16], -v[11:12]
	ds_read_b128 v[13:16], v27
	s_waitcnt lgkmcnt(0)
	v_mul_f64 v[17:18], v[21:22], v[15:16]
	v_fma_f64 v[17:18], -v[13:14], v[19:20], v[17:18]
	v_mul_f64 v[13:14], v[21:22], -v[13:14]
	v_fma_f64 v[19:20], -v[15:16], v[19:20], v[13:14]
	ds_read_b128 v[13:16], v28 offset:1088
	s_waitcnt lgkmcnt(0)
	; wave barrier
	v_mul_f64 v[21:22], v[25:26], v[15:16]
	v_fma_f64 v[21:22], -v[13:14], v[23:24], v[21:22]
	v_mul_f64 v[13:14], v[25:26], -v[13:14]
	v_fma_f64 v[23:24], -v[15:16], v[23:24], v[13:14]
	ds_write_b128 v3, v[5:8] offset:528
	ds_write_b128 v3, v[9:12] offset:2112
	ds_write_b128 v3, v[17:20]
	ds_write_b128 v3, v[21:24] offset:1056
	v_sub_u32_e64 v5, v0, 4 clamp
	v_lshlrev_b32_e32 v27, 4, v5
	s_waitcnt lgkmcnt(0)
	; wave barrier
	ds_read_b128 v[5:8], v27 offset:528
	ds_read_b128 v[9:12], v3
	v_min_u32_e32 v23, 27, v0
	v_lshlrev_b32_e32 v28, 4, v23
	s_waitcnt lgkmcnt(1)
	v_mul_f64 v[13:14], v[7:8], v[7:8]
	v_fma_f64 v[13:14], v[5:6], v[5:6], v[13:14]
	v_div_scale_f64 v[15:16], s[0:1], v[13:14], v[13:14], 1.0
	v_rcp_f64_e32 v[17:18], v[15:16]
	v_fma_f64 v[19:20], -v[15:16], v[17:18], 1.0
	v_fma_f64 v[17:18], v[17:18], v[19:20], v[17:18]
	v_fma_f64 v[19:20], -v[15:16], v[17:18], 1.0
	v_fma_f64 v[17:18], v[17:18], v[19:20], v[17:18]
	v_div_scale_f64 v[19:20], vcc, 1.0, v[13:14], 1.0
	v_mul_f64 v[21:22], v[19:20], v[17:18]
	v_fma_f64 v[15:16], -v[15:16], v[21:22], v[19:20]
	s_nop 1
	v_div_fmas_f64 v[15:16], v[15:16], v[17:18], v[21:22]
	v_div_fixup_f64 v[13:14], v[15:16], v[13:14], 1.0
	s_waitcnt lgkmcnt(0)
	v_mul_f64 v[15:16], v[7:8], v[11:12]
	v_mul_f64 v[7:8], v[7:8], -v[9:10]
	v_fma_f64 v[15:16], v[9:10], v[5:6], v[15:16]
	v_fma_f64 v[5:6], v[11:12], v[5:6], v[7:8]
	v_mul_f64 v[19:20], v[13:14], v[15:16]
	v_mul_f64 v[21:22], v[13:14], v[5:6]
	ds_read_b128 v[5:8], v28 offset:592
	ds_read_b128 v[9:12], v3 offset:1056
	s_waitcnt lgkmcnt(1)
	v_mul_f64 v[13:14], v[7:8], v[7:8]
	v_fma_f64 v[13:14], v[5:6], v[5:6], v[13:14]
	v_div_scale_f64 v[15:16], s[0:1], v[13:14], v[13:14], 1.0
	v_rcp_f64_e32 v[17:18], v[15:16]
	v_fma_f64 v[23:24], -v[15:16], v[17:18], 1.0
	v_fma_f64 v[17:18], v[17:18], v[23:24], v[17:18]
	v_fma_f64 v[23:24], -v[15:16], v[17:18], 1.0
	v_fma_f64 v[17:18], v[17:18], v[23:24], v[17:18]
	v_div_scale_f64 v[23:24], vcc, 1.0, v[13:14], 1.0
	v_mul_f64 v[25:26], v[23:24], v[17:18]
	v_fma_f64 v[15:16], -v[15:16], v[25:26], v[23:24]
	s_nop 1
	v_div_fmas_f64 v[15:16], v[15:16], v[17:18], v[25:26]
	v_div_fixup_f64 v[13:14], v[15:16], v[13:14], 1.0
	s_waitcnt lgkmcnt(0)
	v_mul_f64 v[15:16], v[7:8], v[11:12]
	v_mul_f64 v[7:8], v[7:8], -v[9:10]
	v_fma_f64 v[15:16], v[9:10], v[5:6], v[15:16]
	v_fma_f64 v[5:6], v[11:12], v[5:6], v[7:8]
	v_mul_f64 v[23:24], v[13:14], v[15:16]
	v_mul_f64 v[25:26], v[13:14], v[5:6]
	ds_read_b128 v[5:8], v27 offset:1056
	s_waitcnt lgkmcnt(0)
	v_mul_f64 v[9:10], v[21:22], -v[7:8]
	v_fma_f64 v[9:10], v[5:6], v[19:20], v[9:10]
	v_mul_f64 v[5:6], v[21:22], v[5:6]
	v_fma_f64 v[11:12], v[7:8], v[19:20], v[5:6]
	ds_read_b128 v[5:8], v3 offset:528
	s_waitcnt lgkmcnt(0)
	v_add_f64 v[9:10], v[5:6], -v[9:10]
	v_add_f64 v[11:12], v[7:8], -v[11:12]
	ds_read_b128 v[5:8], v28 offset:64
	s_waitcnt lgkmcnt(0)
	v_mul_f64 v[13:14], v[25:26], -v[7:8]
	v_fma_f64 v[13:14], v[5:6], v[23:24], v[13:14]
	v_mul_f64 v[5:6], v[25:26], v[5:6]
	v_fma_f64 v[7:8], v[7:8], v[23:24], v[5:6]
	v_add_f64 v[5:6], v[9:10], -v[13:14]
	v_add_f64 v[7:8], v[11:12], -v[7:8]
	ds_read_b128 v[9:12], v27 offset:2112
	s_waitcnt lgkmcnt(0)
	v_mul_f64 v[13:14], v[21:22], -v[11:12]
	v_fma_f64 v[13:14], v[9:10], v[19:20], v[13:14]
	v_mul_f64 v[9:10], v[21:22], v[9:10]
	v_fma_f64 v[15:16], v[11:12], v[19:20], v[9:10]
	ds_read_b128 v[9:12], v3 offset:2112
	s_waitcnt lgkmcnt(0)
	v_add_f64 v[13:14], v[9:10], -v[13:14]
	v_add_f64 v[15:16], v[11:12], -v[15:16]
	ds_read_b128 v[9:12], v28 offset:2176
	s_waitcnt lgkmcnt(0)
	v_mul_f64 v[17:18], v[25:26], -v[11:12]
	v_fma_f64 v[17:18], v[9:10], v[23:24], v[17:18]
	v_mul_f64 v[9:10], v[25:26], v[9:10]
	v_fma_f64 v[11:12], v[11:12], v[23:24], v[9:10]
	v_add_f64 v[9:10], v[13:14], -v[17:18]
	v_add_f64 v[11:12], v[15:16], -v[11:12]
	ds_read_b128 v[13:16], v27
	s_waitcnt lgkmcnt(0)
	v_mul_f64 v[17:18], v[21:22], v[15:16]
	v_fma_f64 v[17:18], -v[13:14], v[19:20], v[17:18]
	v_mul_f64 v[13:14], v[21:22], -v[13:14]
	v_fma_f64 v[19:20], -v[15:16], v[19:20], v[13:14]
	ds_read_b128 v[13:16], v28 offset:1120
	s_waitcnt lgkmcnt(0)
	; wave barrier
	v_mul_f64 v[21:22], v[25:26], v[15:16]
	v_fma_f64 v[21:22], -v[13:14], v[23:24], v[21:22]
	v_mul_f64 v[13:14], v[25:26], -v[13:14]
	v_fma_f64 v[23:24], -v[15:16], v[23:24], v[13:14]
	ds_write_b128 v3, v[5:8] offset:528
	ds_write_b128 v3, v[9:12] offset:2112
	ds_write_b128 v3, v[17:20]
	ds_write_b128 v3, v[21:24] offset:1056
	v_sub_u32_e64 v5, v0, 8 clamp
	v_lshlrev_b32_e32 v27, 4, v5
	s_waitcnt lgkmcnt(0)
	; wave barrier
	ds_read_b128 v[5:8], v27 offset:528
	ds_read_b128 v[9:12], v3
	v_min_u32_e32 v23, 23, v0
	v_lshlrev_b32_e32 v28, 4, v23
	s_waitcnt lgkmcnt(1)
	v_mul_f64 v[13:14], v[7:8], v[7:8]
	v_fma_f64 v[13:14], v[5:6], v[5:6], v[13:14]
	v_div_scale_f64 v[15:16], s[0:1], v[13:14], v[13:14], 1.0
	v_rcp_f64_e32 v[17:18], v[15:16]
	v_fma_f64 v[19:20], -v[15:16], v[17:18], 1.0
	v_fma_f64 v[17:18], v[17:18], v[19:20], v[17:18]
	v_fma_f64 v[19:20], -v[15:16], v[17:18], 1.0
	v_fma_f64 v[17:18], v[17:18], v[19:20], v[17:18]
	v_div_scale_f64 v[19:20], vcc, 1.0, v[13:14], 1.0
	v_mul_f64 v[21:22], v[19:20], v[17:18]
	v_fma_f64 v[15:16], -v[15:16], v[21:22], v[19:20]
	s_nop 1
	v_div_fmas_f64 v[15:16], v[15:16], v[17:18], v[21:22]
	v_div_fixup_f64 v[13:14], v[15:16], v[13:14], 1.0
	s_waitcnt lgkmcnt(0)
	v_mul_f64 v[15:16], v[7:8], v[11:12]
	v_mul_f64 v[7:8], v[7:8], -v[9:10]
	v_fma_f64 v[15:16], v[9:10], v[5:6], v[15:16]
	v_fma_f64 v[5:6], v[11:12], v[5:6], v[7:8]
	v_mul_f64 v[19:20], v[13:14], v[15:16]
	v_mul_f64 v[21:22], v[13:14], v[5:6]
	ds_read_b128 v[5:8], v28 offset:656
	ds_read_b128 v[9:12], v3 offset:1056
	s_waitcnt lgkmcnt(1)
	v_mul_f64 v[13:14], v[7:8], v[7:8]
	v_fma_f64 v[13:14], v[5:6], v[5:6], v[13:14]
	v_div_scale_f64 v[15:16], s[0:1], v[13:14], v[13:14], 1.0
	v_rcp_f64_e32 v[17:18], v[15:16]
	v_fma_f64 v[23:24], -v[15:16], v[17:18], 1.0
	v_fma_f64 v[17:18], v[17:18], v[23:24], v[17:18]
	v_fma_f64 v[23:24], -v[15:16], v[17:18], 1.0
	v_fma_f64 v[17:18], v[17:18], v[23:24], v[17:18]
	v_div_scale_f64 v[23:24], vcc, 1.0, v[13:14], 1.0
	v_mul_f64 v[25:26], v[23:24], v[17:18]
	v_fma_f64 v[15:16], -v[15:16], v[25:26], v[23:24]
	s_nop 1
	v_div_fmas_f64 v[15:16], v[15:16], v[17:18], v[25:26]
	v_cmp_gt_u32_e32 vcc, 16, v0
	v_div_fixup_f64 v[13:14], v[15:16], v[13:14], 1.0
	s_waitcnt lgkmcnt(0)
	v_mul_f64 v[15:16], v[7:8], v[11:12]
	v_mul_f64 v[7:8], v[7:8], -v[9:10]
	v_fma_f64 v[15:16], v[9:10], v[5:6], v[15:16]
	v_fma_f64 v[5:6], v[11:12], v[5:6], v[7:8]
	v_mul_f64 v[23:24], v[13:14], v[15:16]
	v_mul_f64 v[25:26], v[13:14], v[5:6]
	ds_read_b128 v[5:8], v27 offset:1056
	s_waitcnt lgkmcnt(0)
	v_mul_f64 v[9:10], v[21:22], -v[7:8]
	v_fma_f64 v[9:10], v[5:6], v[19:20], v[9:10]
	v_mul_f64 v[5:6], v[21:22], v[5:6]
	v_fma_f64 v[11:12], v[7:8], v[19:20], v[5:6]
	ds_read_b128 v[5:8], v3 offset:528
	s_waitcnt lgkmcnt(0)
	v_add_f64 v[9:10], v[5:6], -v[9:10]
	v_add_f64 v[11:12], v[7:8], -v[11:12]
	ds_read_b128 v[5:8], v28 offset:128
	s_waitcnt lgkmcnt(0)
	v_mul_f64 v[13:14], v[25:26], -v[7:8]
	v_fma_f64 v[13:14], v[5:6], v[23:24], v[13:14]
	v_mul_f64 v[5:6], v[25:26], v[5:6]
	v_fma_f64 v[7:8], v[7:8], v[23:24], v[5:6]
	v_add_f64 v[5:6], v[9:10], -v[13:14]
	v_add_f64 v[7:8], v[11:12], -v[7:8]
	ds_read_b128 v[9:12], v27 offset:2112
	s_waitcnt lgkmcnt(0)
	v_mul_f64 v[13:14], v[21:22], -v[11:12]
	v_fma_f64 v[13:14], v[9:10], v[19:20], v[13:14]
	v_mul_f64 v[9:10], v[21:22], v[9:10]
	v_fma_f64 v[15:16], v[11:12], v[19:20], v[9:10]
	ds_read_b128 v[9:12], v3 offset:2112
	s_waitcnt lgkmcnt(0)
	v_add_f64 v[13:14], v[9:10], -v[13:14]
	v_add_f64 v[15:16], v[11:12], -v[15:16]
	ds_read_b128 v[9:12], v28 offset:2240
	s_waitcnt lgkmcnt(0)
	v_mul_f64 v[17:18], v[25:26], -v[11:12]
	v_fma_f64 v[17:18], v[9:10], v[23:24], v[17:18]
	v_mul_f64 v[9:10], v[25:26], v[9:10]
	v_fma_f64 v[11:12], v[11:12], v[23:24], v[9:10]
	v_add_f64 v[9:10], v[13:14], -v[17:18]
	v_add_f64 v[11:12], v[15:16], -v[11:12]
	ds_read_b128 v[13:16], v27
	s_waitcnt lgkmcnt(0)
	v_mul_f64 v[17:18], v[21:22], v[15:16]
	v_fma_f64 v[17:18], -v[13:14], v[19:20], v[17:18]
	v_mul_f64 v[13:14], v[21:22], -v[13:14]
	v_fma_f64 v[19:20], -v[15:16], v[19:20], v[13:14]
	ds_read_b128 v[13:16], v28 offset:1184
	s_waitcnt lgkmcnt(0)
	; wave barrier
	v_mul_f64 v[21:22], v[25:26], v[15:16]
	v_fma_f64 v[21:22], -v[13:14], v[23:24], v[21:22]
	v_mul_f64 v[13:14], v[25:26], -v[13:14]
	v_fma_f64 v[23:24], -v[15:16], v[23:24], v[13:14]
	ds_write_b128 v3, v[5:8] offset:528
	ds_write_b128 v3, v[9:12] offset:2112
	ds_write_b128 v3, v[17:20]
	ds_write_b128 v3, v[21:24] offset:1056
	s_waitcnt lgkmcnt(0)
	; wave barrier
	s_and_saveexec_b64 s[0:1], vcc
	s_cbranch_execz .LBB79_2
; %bb.1:
	v_add_u32_e32 v0, 0x210, v3
	v_add_u32_e32 v17, 0x420, v3
	ds_read_b128 v[5:8], v0
	ds_read_b128 v[9:12], v3 offset:256
	ds_read_b128 v[13:16], v0 offset:256
	ds_read_b128 v[17:20], v17
	s_waitcnt lgkmcnt(1)
	v_mul_f64 v[21:22], v[7:8], v[13:14]
	s_waitcnt lgkmcnt(0)
	v_mul_f64 v[23:24], v[11:12], v[17:18]
	v_mul_f64 v[25:26], v[7:8], -v[15:16]
	v_mul_f64 v[27:28], v[11:12], -v[19:20]
	v_fma_f64 v[21:22], v[15:16], v[5:6], v[21:22]
	v_fma_f64 v[23:24], v[19:20], v[9:10], v[23:24]
	;; [unrolled: 1-line block ×4, first 2 shown]
	v_add_f64 v[29:30], v[21:22], -v[23:24]
	v_add_f64 v[25:26], v[25:26], -v[27:28]
	v_mul_f64 v[21:22], v[29:30], v[29:30]
	v_fma_f64 v[27:28], v[25:26], v[25:26], v[21:22]
	ds_read_b128 v[21:24], v4 offset:256
	s_waitcnt lgkmcnt(0)
	v_mul_f64 v[35:36], v[23:24], -v[19:20]
	v_mul_f64 v[37:38], v[17:18], v[23:24]
	v_div_scale_f64 v[31:32], s[2:3], v[27:28], v[27:28], 1.0
	v_fma_f64 v[17:18], v[17:18], v[21:22], v[35:36]
	v_fma_f64 v[19:20], v[19:20], v[21:22], v[37:38]
	v_mul_f64 v[37:38], v[7:8], -v[23:24]
	v_mul_f64 v[7:8], v[7:8], v[21:22]
	v_fma_f64 v[21:22], v[21:22], v[5:6], v[37:38]
	v_rcp_f64_e32 v[33:34], v[31:32]
	v_fma_f64 v[23:24], v[23:24], v[5:6], v[7:8]
	v_div_scale_f64 v[5:6], vcc, 1.0, v[27:28], 1.0
	v_fma_f64 v[35:36], -v[31:32], v[33:34], 1.0
	v_fma_f64 v[33:34], v[33:34], v[35:36], v[33:34]
	v_fma_f64 v[7:8], -v[31:32], v[33:34], 1.0
	v_fma_f64 v[33:34], v[33:34], v[7:8], v[33:34]
	v_mul_f64 v[35:36], v[5:6], v[33:34]
	v_fma_f64 v[31:32], -v[31:32], v[35:36], v[5:6]
	ds_read_b128 v[4:7], v4
	s_waitcnt lgkmcnt(0)
	v_mul_f64 v[37:38], v[11:12], v[4:5]
	v_mul_f64 v[11:12], v[11:12], -v[6:7]
	v_div_fmas_f64 v[31:32], v[31:32], v[33:34], v[35:36]
	v_mul_f64 v[33:34], v[6:7], -v[15:16]
	v_mul_f64 v[35:36], v[13:14], v[6:7]
	v_fma_f64 v[6:7], v[6:7], v[9:10], v[37:38]
	v_fma_f64 v[13:14], v[13:14], v[4:5], v[33:34]
	;; [unrolled: 1-line block ×3, first 2 shown]
	v_fma_f64 v[33:34], v[25:26], 0, -v[29:30]
	v_fma_f64 v[4:5], v[4:5], v[9:10], v[11:12]
	v_fma_f64 v[10:11], v[29:30], 0, v[25:26]
	v_div_fixup_f64 v[27:28], v[31:32], v[27:28], 1.0
	v_add_f64 v[12:13], v[13:14], -v[17:18]
	v_add_f64 v[8:9], v[15:16], -v[19:20]
	;; [unrolled: 1-line block ×4, first 2 shown]
	v_mul_f64 v[15:16], v[33:34], v[27:28]
	v_mul_f64 v[10:11], v[10:11], v[27:28]
	v_mul_f64 v[4:5], v[15:16], -v[8:9]
	v_mul_f64 v[6:7], v[15:16], v[12:13]
	v_mul_f64 v[21:22], v[15:16], -v[17:18]
	v_mul_f64 v[14:15], v[15:16], v[19:20]
	v_fma_f64 v[4:5], v[12:13], v[10:11], v[4:5]
	v_fma_f64 v[6:7], v[8:9], v[10:11], v[6:7]
	;; [unrolled: 1-line block ×4, first 2 shown]
	ds_write_b128 v3, v[4:7] offset:1584
	ds_write_b128 v3, v[8:11] offset:1840
.LBB79_2:
	s_or_b64 exec, exec, s[0:1]
	s_waitcnt lgkmcnt(0)
	; wave barrier
	ds_read2_b64 v[3:6], v3 offset0:198 offset1:199
	s_waitcnt lgkmcnt(0)
	global_store_dwordx4 v[1:2], v[3:6], off
	s_endpgm
	.section	.rodata,"a",@progbits
	.p2align	6, 0x0
	.amdhsa_kernel _ZN9rocsparseL35gtsv_nopivot_pcr_pow2_shared_kernelILj32E21rocsparse_complex_numIdEEEviiiPKT0_S5_S5_PS3_
		.amdhsa_group_segment_fixed_size 2640
		.amdhsa_private_segment_fixed_size 0
		.amdhsa_kernarg_size 48
		.amdhsa_user_sgpr_count 6
		.amdhsa_user_sgpr_private_segment_buffer 1
		.amdhsa_user_sgpr_dispatch_ptr 0
		.amdhsa_user_sgpr_queue_ptr 0
		.amdhsa_user_sgpr_kernarg_segment_ptr 1
		.amdhsa_user_sgpr_dispatch_id 0
		.amdhsa_user_sgpr_flat_scratch_init 0
		.amdhsa_user_sgpr_private_segment_size 0
		.amdhsa_uses_dynamic_stack 0
		.amdhsa_system_sgpr_private_segment_wavefront_offset 0
		.amdhsa_system_sgpr_workgroup_id_x 1
		.amdhsa_system_sgpr_workgroup_id_y 0
		.amdhsa_system_sgpr_workgroup_id_z 0
		.amdhsa_system_sgpr_workgroup_info 0
		.amdhsa_system_vgpr_workitem_id 0
		.amdhsa_next_free_vgpr 39
		.amdhsa_next_free_sgpr 93
		.amdhsa_reserve_vcc 1
		.amdhsa_reserve_flat_scratch 0
		.amdhsa_float_round_mode_32 0
		.amdhsa_float_round_mode_16_64 0
		.amdhsa_float_denorm_mode_32 3
		.amdhsa_float_denorm_mode_16_64 3
		.amdhsa_dx10_clamp 1
		.amdhsa_ieee_mode 1
		.amdhsa_fp16_overflow 0
		.amdhsa_exception_fp_ieee_invalid_op 0
		.amdhsa_exception_fp_denorm_src 0
		.amdhsa_exception_fp_ieee_div_zero 0
		.amdhsa_exception_fp_ieee_overflow 0
		.amdhsa_exception_fp_ieee_underflow 0
		.amdhsa_exception_fp_ieee_inexact 0
		.amdhsa_exception_int_div_zero 0
	.end_amdhsa_kernel
	.section	.text._ZN9rocsparseL35gtsv_nopivot_pcr_pow2_shared_kernelILj32E21rocsparse_complex_numIdEEEviiiPKT0_S5_S5_PS3_,"axG",@progbits,_ZN9rocsparseL35gtsv_nopivot_pcr_pow2_shared_kernelILj32E21rocsparse_complex_numIdEEEviiiPKT0_S5_S5_PS3_,comdat
.Lfunc_end79:
	.size	_ZN9rocsparseL35gtsv_nopivot_pcr_pow2_shared_kernelILj32E21rocsparse_complex_numIdEEEviiiPKT0_S5_S5_PS3_, .Lfunc_end79-_ZN9rocsparseL35gtsv_nopivot_pcr_pow2_shared_kernelILj32E21rocsparse_complex_numIdEEEviiiPKT0_S5_S5_PS3_
                                        ; -- End function
	.set _ZN9rocsparseL35gtsv_nopivot_pcr_pow2_shared_kernelILj32E21rocsparse_complex_numIdEEEviiiPKT0_S5_S5_PS3_.num_vgpr, 39
	.set _ZN9rocsparseL35gtsv_nopivot_pcr_pow2_shared_kernelILj32E21rocsparse_complex_numIdEEEviiiPKT0_S5_S5_PS3_.num_agpr, 0
	.set _ZN9rocsparseL35gtsv_nopivot_pcr_pow2_shared_kernelILj32E21rocsparse_complex_numIdEEEviiiPKT0_S5_S5_PS3_.numbered_sgpr, 16
	.set _ZN9rocsparseL35gtsv_nopivot_pcr_pow2_shared_kernelILj32E21rocsparse_complex_numIdEEEviiiPKT0_S5_S5_PS3_.num_named_barrier, 0
	.set _ZN9rocsparseL35gtsv_nopivot_pcr_pow2_shared_kernelILj32E21rocsparse_complex_numIdEEEviiiPKT0_S5_S5_PS3_.private_seg_size, 0
	.set _ZN9rocsparseL35gtsv_nopivot_pcr_pow2_shared_kernelILj32E21rocsparse_complex_numIdEEEviiiPKT0_S5_S5_PS3_.uses_vcc, 1
	.set _ZN9rocsparseL35gtsv_nopivot_pcr_pow2_shared_kernelILj32E21rocsparse_complex_numIdEEEviiiPKT0_S5_S5_PS3_.uses_flat_scratch, 0
	.set _ZN9rocsparseL35gtsv_nopivot_pcr_pow2_shared_kernelILj32E21rocsparse_complex_numIdEEEviiiPKT0_S5_S5_PS3_.has_dyn_sized_stack, 0
	.set _ZN9rocsparseL35gtsv_nopivot_pcr_pow2_shared_kernelILj32E21rocsparse_complex_numIdEEEviiiPKT0_S5_S5_PS3_.has_recursion, 0
	.set _ZN9rocsparseL35gtsv_nopivot_pcr_pow2_shared_kernelILj32E21rocsparse_complex_numIdEEEviiiPKT0_S5_S5_PS3_.has_indirect_call, 0
	.section	.AMDGPU.csdata,"",@progbits
; Kernel info:
; codeLenInByte = 3764
; TotalNumSgprs: 20
; NumVgprs: 39
; ScratchSize: 0
; MemoryBound: 0
; FloatMode: 240
; IeeeMode: 1
; LDSByteSize: 2640 bytes/workgroup (compile time only)
; SGPRBlocks: 12
; VGPRBlocks: 9
; NumSGPRsForWavesPerEU: 97
; NumVGPRsForWavesPerEU: 39
; Occupancy: 6
; WaveLimiterHint : 0
; COMPUTE_PGM_RSRC2:SCRATCH_EN: 0
; COMPUTE_PGM_RSRC2:USER_SGPR: 6
; COMPUTE_PGM_RSRC2:TRAP_HANDLER: 0
; COMPUTE_PGM_RSRC2:TGID_X_EN: 1
; COMPUTE_PGM_RSRC2:TGID_Y_EN: 0
; COMPUTE_PGM_RSRC2:TGID_Z_EN: 0
; COMPUTE_PGM_RSRC2:TIDIG_COMP_CNT: 0
	.section	.text._ZN9rocsparseL35gtsv_nopivot_pcr_pow2_shared_kernelILj64E21rocsparse_complex_numIdEEEviiiPKT0_S5_S5_PS3_,"axG",@progbits,_ZN9rocsparseL35gtsv_nopivot_pcr_pow2_shared_kernelILj64E21rocsparse_complex_numIdEEEviiiPKT0_S5_S5_PS3_,comdat
	.globl	_ZN9rocsparseL35gtsv_nopivot_pcr_pow2_shared_kernelILj64E21rocsparse_complex_numIdEEEviiiPKT0_S5_S5_PS3_ ; -- Begin function _ZN9rocsparseL35gtsv_nopivot_pcr_pow2_shared_kernelILj64E21rocsparse_complex_numIdEEEviiiPKT0_S5_S5_PS3_
	.p2align	8
	.type	_ZN9rocsparseL35gtsv_nopivot_pcr_pow2_shared_kernelILj64E21rocsparse_complex_numIdEEEviiiPKT0_S5_S5_PS3_,@function
_ZN9rocsparseL35gtsv_nopivot_pcr_pow2_shared_kernelILj64E21rocsparse_complex_numIdEEEviiiPKT0_S5_S5_PS3_: ; @_ZN9rocsparseL35gtsv_nopivot_pcr_pow2_shared_kernelILj64E21rocsparse_complex_numIdEEEviiiPKT0_S5_S5_PS3_
; %bb.0:
	s_load_dwordx8 s[8:15], s[4:5], 0x10
	s_load_dword s0, s[4:5], 0x8
	v_mov_b32_e32 v2, 0
	v_lshlrev_b32_e32 v3, 4, v0
	v_sub_u32_e64 v22, v0, 1 clamp
	s_waitcnt lgkmcnt(0)
	global_load_dwordx4 v[6:9], v3, s[8:9]
	global_load_dwordx4 v[10:13], v3, s[10:11]
	;; [unrolled: 1-line block ×3, first 2 shown]
	s_mul_i32 s0, s0, s6
	v_add_u32_e32 v1, s0, v0
	v_lshlrev_b64 v[1:2], 4, v[1:2]
	v_mov_b32_e32 v4, s15
	v_add_co_u32_e32 v1, vcc, s14, v1
	v_addc_co_u32_e32 v2, vcc, v4, v2, vcc
	global_load_dwordx4 v[18:21], v[1:2], off
	v_lshlrev_b32_e32 v50, 4, v22
	v_add_u32_e32 v5, 0x820, v3
	v_add_u32_e32 v4, 0x1040, v3
	s_waitcnt vmcnt(3)
	ds_write2_b64 v3, v[6:7], v[8:9] offset1:1
	s_waitcnt vmcnt(2)
	ds_write2_b64 v3, v[10:11], v[12:13] offset0:130 offset1:131
	s_waitcnt vmcnt(1)
	ds_write2_b64 v5, v[14:15], v[16:17] offset1:1
	s_waitcnt vmcnt(0)
	ds_write2_b64 v4, v[18:19], v[20:21] offset1:1
	s_waitcnt lgkmcnt(0)
	; wave barrier
	ds_read_b128 v[6:9], v50 offset:1040
	v_min_u32_e32 v10, 62, v0
	v_lshlrev_b32_e32 v51, 4, v10
	ds_read_b128 v[10:13], v50
	ds_read_b128 v[14:17], v51 offset:1056
	ds_read_b128 v[18:21], v51 offset:16
	s_waitcnt lgkmcnt(3)
	v_mul_f64 v[22:23], v[8:9], v[8:9]
	s_waitcnt lgkmcnt(1)
	v_mul_f64 v[24:25], v[16:17], v[16:17]
	v_fma_f64 v[38:39], v[6:7], v[6:7], v[22:23]
	v_fma_f64 v[40:41], v[14:15], v[14:15], v[24:25]
	v_div_scale_f64 v[22:23], s[0:1], v[38:39], v[38:39], 1.0
	v_div_scale_f64 v[24:25], s[0:1], v[40:41], v[40:41], 1.0
	v_div_scale_f64 v[34:35], s[0:1], 1.0, v[40:41], 1.0
	v_rcp_f64_e32 v[26:27], v[22:23]
	v_rcp_f64_e32 v[28:29], v[24:25]
	v_fma_f64 v[30:31], -v[22:23], v[26:27], 1.0
	v_fma_f64 v[32:33], -v[24:25], v[28:29], 1.0
	v_fma_f64 v[26:27], v[26:27], v[30:31], v[26:27]
	v_div_scale_f64 v[30:31], vcc, 1.0, v[38:39], 1.0
	v_fma_f64 v[28:29], v[28:29], v[32:33], v[28:29]
	v_fma_f64 v[32:33], -v[22:23], v[26:27], 1.0
	v_fma_f64 v[36:37], -v[24:25], v[28:29], 1.0
	v_fma_f64 v[26:27], v[26:27], v[32:33], v[26:27]
	v_fma_f64 v[32:33], v[28:29], v[36:37], v[28:29]
	v_mul_f64 v[28:29], v[30:31], v[26:27]
	v_mul_f64 v[36:37], v[34:35], v[32:33]
	v_fma_f64 v[22:23], -v[22:23], v[28:29], v[30:31]
	v_fma_f64 v[30:31], -v[24:25], v[36:37], v[34:35]
	v_div_fmas_f64 v[42:43], v[22:23], v[26:27], v[28:29]
	ds_read_b128 v[22:25], v3
	ds_read_b128 v[26:29], v3 offset:1040
	s_mov_b64 vcc, s[0:1]
	v_div_fmas_f64 v[44:45], v[30:31], v[32:33], v[36:37]
	ds_read_b128 v[30:33], v3 offset:2080
	ds_read_b128 v[34:37], v3 offset:4160
	s_waitcnt lgkmcnt(3)
	v_mul_f64 v[46:47], v[8:9], -v[22:23]
	v_mul_f64 v[8:9], v[8:9], v[24:25]
	s_waitcnt lgkmcnt(1)
	v_mul_f64 v[48:49], v[16:17], -v[30:31]
	v_mul_f64 v[16:17], v[16:17], v[32:33]
	v_fma_f64 v[24:25], v[24:25], v[6:7], v[46:47]
	v_div_fixup_f64 v[38:39], v[42:43], v[38:39], 1.0
	v_fma_f64 v[42:43], v[22:23], v[6:7], v[8:9]
	v_fma_f64 v[46:47], v[32:33], v[14:15], v[48:49]
	v_div_fixup_f64 v[40:41], v[44:45], v[40:41], 1.0
	v_fma_f64 v[44:45], v[30:31], v[14:15], v[16:17]
	v_mul_f64 v[48:49], v[38:39], v[24:25]
	ds_read_b128 v[6:9], v50 offset:2080
	ds_read_b128 v[14:17], v50 offset:4160
	;; [unrolled: 1-line block ×4, first 2 shown]
	v_mul_f64 v[38:39], v[38:39], v[42:43]
	v_mul_f64 v[42:43], v[40:41], v[46:47]
	;; [unrolled: 1-line block ×3, first 2 shown]
	s_waitcnt lgkmcnt(0)
	; wave barrier
	v_mul_f64 v[44:45], v[48:49], -v[8:9]
	v_mul_f64 v[46:47], v[48:49], v[6:7]
	v_mul_f64 v[50:51], v[48:49], -v[16:17]
	v_mul_f64 v[52:53], v[48:49], v[14:15]
	;; [unrolled: 2-line block ×4, first 2 shown]
	v_fma_f64 v[6:7], v[6:7], v[38:39], v[44:45]
	v_fma_f64 v[8:9], v[8:9], v[38:39], v[46:47]
	;; [unrolled: 1-line block ×4, first 2 shown]
	v_mul_f64 v[54:55], v[48:49], v[12:13]
	v_mul_f64 v[48:49], v[48:49], -v[10:11]
	v_mul_f64 v[64:65], v[42:43], v[32:33]
	v_mul_f64 v[42:43], v[42:43], -v[30:31]
	v_fma_f64 v[18:19], v[18:19], v[40:41], v[56:57]
	v_fma_f64 v[20:21], v[20:21], v[40:41], v[58:59]
	v_add_f64 v[26:27], v[26:27], -v[6:7]
	v_add_f64 v[28:29], v[28:29], -v[8:9]
	v_fma_f64 v[22:23], v[22:23], v[40:41], v[60:61]
	v_fma_f64 v[24:25], v[24:25], v[40:41], v[62:63]
	v_add_f64 v[34:35], v[34:35], -v[14:15]
	v_add_f64 v[36:37], v[36:37], -v[16:17]
	v_fma_f64 v[6:7], -v[10:11], v[38:39], v[54:55]
	v_fma_f64 v[8:9], -v[12:13], v[38:39], v[48:49]
	v_fma_f64 v[10:11], -v[30:31], v[40:41], v[64:65]
	v_fma_f64 v[12:13], -v[32:33], v[40:41], v[42:43]
	v_add_f64 v[14:15], v[26:27], -v[18:19]
	v_add_f64 v[16:17], v[28:29], -v[20:21]
	;; [unrolled: 1-line block ×4, first 2 shown]
	v_sub_u32_e64 v22, v0, 2 clamp
	v_lshlrev_b32_e32 v50, 4, v22
	ds_write_b128 v3, v[6:9]
	ds_write_b128 v3, v[10:13] offset:2080
	ds_write_b128 v3, v[14:17] offset:1040
	ds_write_b128 v3, v[18:21] offset:4160
	s_waitcnt lgkmcnt(0)
	; wave barrier
	ds_read_b128 v[6:9], v50 offset:1040
	v_min_u32_e32 v10, 61, v0
	v_lshlrev_b32_e32 v51, 4, v10
	ds_read_b128 v[10:13], v50
	ds_read_b128 v[14:17], v51 offset:1072
	ds_read_b128 v[18:21], v51 offset:32
	s_waitcnt lgkmcnt(3)
	v_mul_f64 v[22:23], v[8:9], v[8:9]
	s_waitcnt lgkmcnt(1)
	v_mul_f64 v[24:25], v[16:17], v[16:17]
	v_fma_f64 v[38:39], v[6:7], v[6:7], v[22:23]
	v_fma_f64 v[40:41], v[14:15], v[14:15], v[24:25]
	v_div_scale_f64 v[22:23], s[0:1], v[38:39], v[38:39], 1.0
	v_div_scale_f64 v[24:25], s[0:1], v[40:41], v[40:41], 1.0
	v_div_scale_f64 v[34:35], s[0:1], 1.0, v[40:41], 1.0
	v_rcp_f64_e32 v[26:27], v[22:23]
	v_rcp_f64_e32 v[28:29], v[24:25]
	v_fma_f64 v[30:31], -v[22:23], v[26:27], 1.0
	v_fma_f64 v[32:33], -v[24:25], v[28:29], 1.0
	v_fma_f64 v[26:27], v[26:27], v[30:31], v[26:27]
	v_div_scale_f64 v[30:31], vcc, 1.0, v[38:39], 1.0
	v_fma_f64 v[28:29], v[28:29], v[32:33], v[28:29]
	v_fma_f64 v[32:33], -v[22:23], v[26:27], 1.0
	v_fma_f64 v[36:37], -v[24:25], v[28:29], 1.0
	v_fma_f64 v[26:27], v[26:27], v[32:33], v[26:27]
	v_fma_f64 v[32:33], v[28:29], v[36:37], v[28:29]
	v_mul_f64 v[28:29], v[30:31], v[26:27]
	v_mul_f64 v[36:37], v[34:35], v[32:33]
	v_fma_f64 v[22:23], -v[22:23], v[28:29], v[30:31]
	v_fma_f64 v[30:31], -v[24:25], v[36:37], v[34:35]
	v_div_fmas_f64 v[42:43], v[22:23], v[26:27], v[28:29]
	ds_read_b128 v[22:25], v3
	ds_read_b128 v[26:29], v3 offset:1040
	s_mov_b64 vcc, s[0:1]
	v_div_fmas_f64 v[44:45], v[30:31], v[32:33], v[36:37]
	ds_read_b128 v[30:33], v3 offset:2080
	ds_read_b128 v[34:37], v3 offset:4160
	s_waitcnt lgkmcnt(3)
	v_mul_f64 v[46:47], v[8:9], -v[22:23]
	v_mul_f64 v[8:9], v[8:9], v[24:25]
	s_waitcnt lgkmcnt(1)
	v_mul_f64 v[48:49], v[16:17], -v[30:31]
	v_mul_f64 v[16:17], v[16:17], v[32:33]
	v_fma_f64 v[24:25], v[24:25], v[6:7], v[46:47]
	v_div_fixup_f64 v[38:39], v[42:43], v[38:39], 1.0
	v_fma_f64 v[42:43], v[22:23], v[6:7], v[8:9]
	v_fma_f64 v[46:47], v[32:33], v[14:15], v[48:49]
	v_div_fixup_f64 v[40:41], v[44:45], v[40:41], 1.0
	v_fma_f64 v[44:45], v[30:31], v[14:15], v[16:17]
	v_mul_f64 v[48:49], v[38:39], v[24:25]
	ds_read_b128 v[6:9], v50 offset:2080
	ds_read_b128 v[14:17], v50 offset:4160
	;; [unrolled: 1-line block ×4, first 2 shown]
	v_mul_f64 v[38:39], v[38:39], v[42:43]
	v_mul_f64 v[42:43], v[40:41], v[46:47]
	;; [unrolled: 1-line block ×3, first 2 shown]
	s_waitcnt lgkmcnt(0)
	; wave barrier
	v_mul_f64 v[44:45], v[48:49], -v[8:9]
	v_mul_f64 v[46:47], v[48:49], v[6:7]
	v_mul_f64 v[50:51], v[48:49], -v[16:17]
	v_mul_f64 v[52:53], v[48:49], v[14:15]
	;; [unrolled: 2-line block ×4, first 2 shown]
	v_fma_f64 v[6:7], v[6:7], v[38:39], v[44:45]
	v_fma_f64 v[8:9], v[8:9], v[38:39], v[46:47]
	;; [unrolled: 1-line block ×4, first 2 shown]
	v_mul_f64 v[54:55], v[48:49], v[12:13]
	v_mul_f64 v[48:49], v[48:49], -v[10:11]
	v_mul_f64 v[64:65], v[42:43], v[32:33]
	v_mul_f64 v[42:43], v[42:43], -v[30:31]
	v_fma_f64 v[18:19], v[18:19], v[40:41], v[56:57]
	v_fma_f64 v[20:21], v[20:21], v[40:41], v[58:59]
	v_add_f64 v[26:27], v[26:27], -v[6:7]
	v_add_f64 v[28:29], v[28:29], -v[8:9]
	v_fma_f64 v[22:23], v[22:23], v[40:41], v[60:61]
	v_fma_f64 v[24:25], v[24:25], v[40:41], v[62:63]
	v_add_f64 v[34:35], v[34:35], -v[14:15]
	v_add_f64 v[36:37], v[36:37], -v[16:17]
	v_fma_f64 v[6:7], -v[10:11], v[38:39], v[54:55]
	v_fma_f64 v[8:9], -v[12:13], v[38:39], v[48:49]
	;; [unrolled: 1-line block ×4, first 2 shown]
	v_add_f64 v[14:15], v[26:27], -v[18:19]
	v_add_f64 v[16:17], v[28:29], -v[20:21]
	;; [unrolled: 1-line block ×4, first 2 shown]
	v_sub_u32_e64 v22, v0, 4 clamp
	v_lshlrev_b32_e32 v50, 4, v22
	ds_write_b128 v3, v[6:9]
	ds_write_b128 v3, v[10:13] offset:2080
	ds_write_b128 v3, v[14:17] offset:1040
	;; [unrolled: 1-line block ×3, first 2 shown]
	s_waitcnt lgkmcnt(0)
	; wave barrier
	ds_read_b128 v[6:9], v50 offset:1040
	v_min_u32_e32 v10, 59, v0
	v_lshlrev_b32_e32 v51, 4, v10
	ds_read_b128 v[10:13], v50
	ds_read_b128 v[14:17], v51 offset:1104
	ds_read_b128 v[18:21], v51 offset:64
	s_waitcnt lgkmcnt(3)
	v_mul_f64 v[22:23], v[8:9], v[8:9]
	s_waitcnt lgkmcnt(1)
	v_mul_f64 v[24:25], v[16:17], v[16:17]
	v_fma_f64 v[38:39], v[6:7], v[6:7], v[22:23]
	v_fma_f64 v[40:41], v[14:15], v[14:15], v[24:25]
	v_div_scale_f64 v[22:23], s[0:1], v[38:39], v[38:39], 1.0
	v_div_scale_f64 v[24:25], s[0:1], v[40:41], v[40:41], 1.0
	v_div_scale_f64 v[34:35], s[0:1], 1.0, v[40:41], 1.0
	v_rcp_f64_e32 v[26:27], v[22:23]
	v_rcp_f64_e32 v[28:29], v[24:25]
	v_fma_f64 v[30:31], -v[22:23], v[26:27], 1.0
	v_fma_f64 v[32:33], -v[24:25], v[28:29], 1.0
	v_fma_f64 v[26:27], v[26:27], v[30:31], v[26:27]
	v_div_scale_f64 v[30:31], vcc, 1.0, v[38:39], 1.0
	v_fma_f64 v[28:29], v[28:29], v[32:33], v[28:29]
	v_fma_f64 v[32:33], -v[22:23], v[26:27], 1.0
	v_fma_f64 v[36:37], -v[24:25], v[28:29], 1.0
	v_fma_f64 v[26:27], v[26:27], v[32:33], v[26:27]
	v_fma_f64 v[32:33], v[28:29], v[36:37], v[28:29]
	v_mul_f64 v[28:29], v[30:31], v[26:27]
	v_mul_f64 v[36:37], v[34:35], v[32:33]
	v_fma_f64 v[22:23], -v[22:23], v[28:29], v[30:31]
	v_fma_f64 v[30:31], -v[24:25], v[36:37], v[34:35]
	v_div_fmas_f64 v[42:43], v[22:23], v[26:27], v[28:29]
	ds_read_b128 v[22:25], v3
	ds_read_b128 v[26:29], v3 offset:1040
	s_mov_b64 vcc, s[0:1]
	v_div_fmas_f64 v[44:45], v[30:31], v[32:33], v[36:37]
	ds_read_b128 v[30:33], v3 offset:2080
	ds_read_b128 v[34:37], v3 offset:4160
	s_waitcnt lgkmcnt(3)
	v_mul_f64 v[46:47], v[8:9], -v[22:23]
	v_mul_f64 v[8:9], v[8:9], v[24:25]
	s_waitcnt lgkmcnt(1)
	v_mul_f64 v[48:49], v[16:17], -v[30:31]
	v_mul_f64 v[16:17], v[16:17], v[32:33]
	v_fma_f64 v[24:25], v[24:25], v[6:7], v[46:47]
	v_div_fixup_f64 v[38:39], v[42:43], v[38:39], 1.0
	v_fma_f64 v[42:43], v[22:23], v[6:7], v[8:9]
	v_fma_f64 v[46:47], v[32:33], v[14:15], v[48:49]
	v_div_fixup_f64 v[40:41], v[44:45], v[40:41], 1.0
	v_fma_f64 v[44:45], v[30:31], v[14:15], v[16:17]
	v_mul_f64 v[48:49], v[38:39], v[24:25]
	ds_read_b128 v[6:9], v50 offset:2080
	ds_read_b128 v[14:17], v50 offset:4160
	;; [unrolled: 1-line block ×4, first 2 shown]
	v_mul_f64 v[38:39], v[38:39], v[42:43]
	v_mul_f64 v[42:43], v[40:41], v[46:47]
	;; [unrolled: 1-line block ×3, first 2 shown]
	s_waitcnt lgkmcnt(0)
	; wave barrier
	v_mul_f64 v[44:45], v[48:49], -v[8:9]
	v_mul_f64 v[46:47], v[48:49], v[6:7]
	v_mul_f64 v[50:51], v[48:49], -v[16:17]
	v_mul_f64 v[52:53], v[48:49], v[14:15]
	;; [unrolled: 2-line block ×4, first 2 shown]
	v_fma_f64 v[6:7], v[6:7], v[38:39], v[44:45]
	v_fma_f64 v[8:9], v[8:9], v[38:39], v[46:47]
	;; [unrolled: 1-line block ×4, first 2 shown]
	v_mul_f64 v[54:55], v[48:49], v[12:13]
	v_mul_f64 v[48:49], v[48:49], -v[10:11]
	v_mul_f64 v[64:65], v[42:43], v[32:33]
	v_mul_f64 v[42:43], v[42:43], -v[30:31]
	v_fma_f64 v[18:19], v[18:19], v[40:41], v[56:57]
	v_fma_f64 v[20:21], v[20:21], v[40:41], v[58:59]
	v_add_f64 v[26:27], v[26:27], -v[6:7]
	v_add_f64 v[28:29], v[28:29], -v[8:9]
	v_fma_f64 v[22:23], v[22:23], v[40:41], v[60:61]
	v_fma_f64 v[24:25], v[24:25], v[40:41], v[62:63]
	v_add_f64 v[34:35], v[34:35], -v[14:15]
	v_add_f64 v[36:37], v[36:37], -v[16:17]
	v_fma_f64 v[6:7], -v[10:11], v[38:39], v[54:55]
	v_fma_f64 v[8:9], -v[12:13], v[38:39], v[48:49]
	v_fma_f64 v[10:11], -v[30:31], v[40:41], v[64:65]
	v_fma_f64 v[12:13], -v[32:33], v[40:41], v[42:43]
	v_add_f64 v[14:15], v[26:27], -v[18:19]
	v_add_f64 v[16:17], v[28:29], -v[20:21]
	;; [unrolled: 1-line block ×4, first 2 shown]
	v_sub_u32_e64 v22, v0, 8 clamp
	v_lshlrev_b32_e32 v50, 4, v22
	ds_write_b128 v3, v[6:9]
	ds_write_b128 v3, v[10:13] offset:2080
	ds_write_b128 v3, v[14:17] offset:1040
	;; [unrolled: 1-line block ×3, first 2 shown]
	s_waitcnt lgkmcnt(0)
	; wave barrier
	ds_read_b128 v[6:9], v50 offset:1040
	v_min_u32_e32 v10, 55, v0
	v_lshlrev_b32_e32 v51, 4, v10
	ds_read_b128 v[10:13], v50
	ds_read_b128 v[14:17], v51 offset:1168
	ds_read_b128 v[18:21], v51 offset:128
	s_waitcnt lgkmcnt(3)
	v_mul_f64 v[22:23], v[8:9], v[8:9]
	s_waitcnt lgkmcnt(1)
	v_mul_f64 v[24:25], v[16:17], v[16:17]
	v_fma_f64 v[38:39], v[6:7], v[6:7], v[22:23]
	v_fma_f64 v[40:41], v[14:15], v[14:15], v[24:25]
	v_div_scale_f64 v[22:23], s[0:1], v[38:39], v[38:39], 1.0
	v_div_scale_f64 v[24:25], s[0:1], v[40:41], v[40:41], 1.0
	v_div_scale_f64 v[34:35], s[0:1], 1.0, v[40:41], 1.0
	v_rcp_f64_e32 v[26:27], v[22:23]
	v_rcp_f64_e32 v[28:29], v[24:25]
	v_fma_f64 v[30:31], -v[22:23], v[26:27], 1.0
	v_fma_f64 v[32:33], -v[24:25], v[28:29], 1.0
	v_fma_f64 v[26:27], v[26:27], v[30:31], v[26:27]
	v_div_scale_f64 v[30:31], vcc, 1.0, v[38:39], 1.0
	v_fma_f64 v[28:29], v[28:29], v[32:33], v[28:29]
	v_fma_f64 v[32:33], -v[22:23], v[26:27], 1.0
	v_fma_f64 v[36:37], -v[24:25], v[28:29], 1.0
	v_fma_f64 v[26:27], v[26:27], v[32:33], v[26:27]
	v_fma_f64 v[32:33], v[28:29], v[36:37], v[28:29]
	v_mul_f64 v[28:29], v[30:31], v[26:27]
	v_mul_f64 v[36:37], v[34:35], v[32:33]
	v_fma_f64 v[22:23], -v[22:23], v[28:29], v[30:31]
	v_fma_f64 v[30:31], -v[24:25], v[36:37], v[34:35]
	v_div_fmas_f64 v[42:43], v[22:23], v[26:27], v[28:29]
	ds_read_b128 v[22:25], v3
	ds_read_b128 v[26:29], v3 offset:1040
	s_mov_b64 vcc, s[0:1]
	v_div_fmas_f64 v[44:45], v[30:31], v[32:33], v[36:37]
	ds_read_b128 v[30:33], v3 offset:2080
	ds_read_b128 v[34:37], v3 offset:4160
	s_waitcnt lgkmcnt(3)
	v_mul_f64 v[46:47], v[8:9], -v[22:23]
	v_mul_f64 v[8:9], v[8:9], v[24:25]
	s_waitcnt lgkmcnt(1)
	v_mul_f64 v[48:49], v[16:17], -v[30:31]
	v_mul_f64 v[16:17], v[16:17], v[32:33]
	v_fma_f64 v[24:25], v[24:25], v[6:7], v[46:47]
	v_div_fixup_f64 v[38:39], v[42:43], v[38:39], 1.0
	v_fma_f64 v[42:43], v[22:23], v[6:7], v[8:9]
	v_fma_f64 v[46:47], v[32:33], v[14:15], v[48:49]
	v_div_fixup_f64 v[40:41], v[44:45], v[40:41], 1.0
	v_fma_f64 v[44:45], v[30:31], v[14:15], v[16:17]
	v_mul_f64 v[48:49], v[38:39], v[24:25]
	ds_read_b128 v[6:9], v50 offset:2080
	ds_read_b128 v[14:17], v50 offset:4160
	;; [unrolled: 1-line block ×4, first 2 shown]
	v_mul_f64 v[38:39], v[38:39], v[42:43]
	v_mul_f64 v[42:43], v[40:41], v[46:47]
	;; [unrolled: 1-line block ×3, first 2 shown]
	s_waitcnt lgkmcnt(0)
	; wave barrier
	v_mul_f64 v[44:45], v[48:49], -v[8:9]
	v_mul_f64 v[46:47], v[48:49], v[6:7]
	v_mul_f64 v[50:51], v[48:49], -v[16:17]
	v_mul_f64 v[52:53], v[48:49], v[14:15]
	;; [unrolled: 2-line block ×4, first 2 shown]
	v_fma_f64 v[6:7], v[6:7], v[38:39], v[44:45]
	v_fma_f64 v[8:9], v[8:9], v[38:39], v[46:47]
	;; [unrolled: 1-line block ×4, first 2 shown]
	v_mul_f64 v[54:55], v[48:49], v[12:13]
	v_mul_f64 v[48:49], v[48:49], -v[10:11]
	v_mul_f64 v[64:65], v[42:43], v[32:33]
	v_mul_f64 v[42:43], v[42:43], -v[30:31]
	v_fma_f64 v[18:19], v[18:19], v[40:41], v[56:57]
	v_fma_f64 v[20:21], v[20:21], v[40:41], v[58:59]
	v_add_f64 v[26:27], v[26:27], -v[6:7]
	v_add_f64 v[28:29], v[28:29], -v[8:9]
	v_fma_f64 v[22:23], v[22:23], v[40:41], v[60:61]
	v_fma_f64 v[24:25], v[24:25], v[40:41], v[62:63]
	v_add_f64 v[34:35], v[34:35], -v[14:15]
	v_add_f64 v[36:37], v[36:37], -v[16:17]
	v_fma_f64 v[6:7], -v[10:11], v[38:39], v[54:55]
	v_fma_f64 v[8:9], -v[12:13], v[38:39], v[48:49]
	v_fma_f64 v[10:11], -v[30:31], v[40:41], v[64:65]
	v_fma_f64 v[12:13], -v[32:33], v[40:41], v[42:43]
	v_add_f64 v[14:15], v[26:27], -v[18:19]
	v_add_f64 v[16:17], v[28:29], -v[20:21]
	v_add_f64 v[18:19], v[34:35], -v[22:23]
	v_add_f64 v[20:21], v[36:37], -v[24:25]
	v_sub_u32_e64 v22, v0, 16 clamp
	v_lshlrev_b32_e32 v50, 4, v22
	ds_write_b128 v3, v[6:9]
	ds_write_b128 v3, v[10:13] offset:2080
	ds_write_b128 v3, v[14:17] offset:1040
	;; [unrolled: 1-line block ×3, first 2 shown]
	s_waitcnt lgkmcnt(0)
	; wave barrier
	ds_read_b128 v[6:9], v50 offset:1040
	v_min_u32_e32 v10, 47, v0
	v_lshlrev_b32_e32 v51, 4, v10
	ds_read_b128 v[10:13], v50
	ds_read_b128 v[14:17], v51 offset:1296
	ds_read_b128 v[18:21], v51 offset:256
	s_waitcnt lgkmcnt(3)
	v_mul_f64 v[22:23], v[8:9], v[8:9]
	s_waitcnt lgkmcnt(1)
	v_mul_f64 v[24:25], v[16:17], v[16:17]
	v_fma_f64 v[38:39], v[6:7], v[6:7], v[22:23]
	v_fma_f64 v[40:41], v[14:15], v[14:15], v[24:25]
	v_div_scale_f64 v[22:23], s[0:1], v[38:39], v[38:39], 1.0
	v_div_scale_f64 v[24:25], s[0:1], v[40:41], v[40:41], 1.0
	v_div_scale_f64 v[34:35], s[0:1], 1.0, v[40:41], 1.0
	v_rcp_f64_e32 v[26:27], v[22:23]
	v_rcp_f64_e32 v[28:29], v[24:25]
	v_fma_f64 v[30:31], -v[22:23], v[26:27], 1.0
	v_fma_f64 v[32:33], -v[24:25], v[28:29], 1.0
	v_fma_f64 v[26:27], v[26:27], v[30:31], v[26:27]
	v_div_scale_f64 v[30:31], vcc, 1.0, v[38:39], 1.0
	v_fma_f64 v[28:29], v[28:29], v[32:33], v[28:29]
	v_fma_f64 v[32:33], -v[22:23], v[26:27], 1.0
	v_fma_f64 v[36:37], -v[24:25], v[28:29], 1.0
	v_fma_f64 v[26:27], v[26:27], v[32:33], v[26:27]
	v_fma_f64 v[32:33], v[28:29], v[36:37], v[28:29]
	v_mul_f64 v[28:29], v[30:31], v[26:27]
	v_mul_f64 v[36:37], v[34:35], v[32:33]
	v_fma_f64 v[22:23], -v[22:23], v[28:29], v[30:31]
	v_fma_f64 v[30:31], -v[24:25], v[36:37], v[34:35]
	v_div_fmas_f64 v[42:43], v[22:23], v[26:27], v[28:29]
	ds_read_b128 v[22:25], v3
	ds_read_b128 v[26:29], v3 offset:1040
	s_mov_b64 vcc, s[0:1]
	v_div_fmas_f64 v[44:45], v[30:31], v[32:33], v[36:37]
	ds_read_b128 v[30:33], v3 offset:2080
	ds_read_b128 v[34:37], v3 offset:4160
	s_waitcnt lgkmcnt(3)
	v_mul_f64 v[46:47], v[8:9], -v[22:23]
	v_mul_f64 v[8:9], v[8:9], v[24:25]
	v_cmp_gt_u32_e32 vcc, 32, v0
	s_waitcnt lgkmcnt(1)
	v_mul_f64 v[48:49], v[16:17], -v[30:31]
	v_mul_f64 v[16:17], v[16:17], v[32:33]
	v_fma_f64 v[24:25], v[24:25], v[6:7], v[46:47]
	v_div_fixup_f64 v[38:39], v[42:43], v[38:39], 1.0
	v_fma_f64 v[42:43], v[22:23], v[6:7], v[8:9]
	v_fma_f64 v[46:47], v[32:33], v[14:15], v[48:49]
	v_div_fixup_f64 v[40:41], v[44:45], v[40:41], 1.0
	v_fma_f64 v[44:45], v[30:31], v[14:15], v[16:17]
	v_mul_f64 v[48:49], v[38:39], v[24:25]
	ds_read_b128 v[6:9], v50 offset:2080
	ds_read_b128 v[14:17], v50 offset:4160
	;; [unrolled: 1-line block ×4, first 2 shown]
	v_mul_f64 v[38:39], v[38:39], v[42:43]
	v_mul_f64 v[42:43], v[40:41], v[46:47]
	;; [unrolled: 1-line block ×3, first 2 shown]
	s_waitcnt lgkmcnt(0)
	; wave barrier
	v_mul_f64 v[44:45], v[48:49], -v[8:9]
	v_mul_f64 v[46:47], v[48:49], v[6:7]
	v_mul_f64 v[50:51], v[48:49], -v[16:17]
	v_mul_f64 v[52:53], v[48:49], v[14:15]
	;; [unrolled: 2-line block ×4, first 2 shown]
	v_fma_f64 v[6:7], v[6:7], v[38:39], v[44:45]
	v_fma_f64 v[8:9], v[8:9], v[38:39], v[46:47]
	;; [unrolled: 1-line block ×4, first 2 shown]
	v_mul_f64 v[54:55], v[48:49], v[12:13]
	v_mul_f64 v[48:49], v[48:49], -v[10:11]
	v_mul_f64 v[64:65], v[42:43], v[32:33]
	v_mul_f64 v[42:43], v[42:43], -v[30:31]
	v_fma_f64 v[18:19], v[18:19], v[40:41], v[56:57]
	v_fma_f64 v[20:21], v[20:21], v[40:41], v[58:59]
	v_add_f64 v[26:27], v[26:27], -v[6:7]
	v_add_f64 v[28:29], v[28:29], -v[8:9]
	v_fma_f64 v[22:23], v[22:23], v[40:41], v[60:61]
	v_fma_f64 v[24:25], v[24:25], v[40:41], v[62:63]
	v_add_f64 v[34:35], v[34:35], -v[14:15]
	v_add_f64 v[36:37], v[36:37], -v[16:17]
	v_fma_f64 v[6:7], -v[10:11], v[38:39], v[54:55]
	v_fma_f64 v[8:9], -v[12:13], v[38:39], v[48:49]
	;; [unrolled: 1-line block ×4, first 2 shown]
	v_add_f64 v[14:15], v[26:27], -v[18:19]
	v_add_f64 v[16:17], v[28:29], -v[20:21]
	;; [unrolled: 1-line block ×4, first 2 shown]
	ds_write_b128 v3, v[6:9]
	ds_write_b128 v3, v[10:13] offset:2080
	ds_write_b128 v3, v[14:17] offset:1040
	;; [unrolled: 1-line block ×3, first 2 shown]
	s_waitcnt lgkmcnt(0)
	; wave barrier
	s_and_saveexec_b64 s[0:1], vcc
	s_cbranch_execz .LBB80_2
; %bb.1:
	v_add_u32_e32 v14, 0x410, v3
	ds_read_b128 v[6:9], v14
	ds_read_b128 v[10:13], v3 offset:512
	ds_read_b128 v[14:17], v14 offset:512
	ds_read_b128 v[18:21], v5
	s_waitcnt lgkmcnt(1)
	v_mul_f64 v[22:23], v[8:9], v[14:15]
	s_waitcnt lgkmcnt(0)
	v_mul_f64 v[24:25], v[12:13], v[18:19]
	v_mul_f64 v[26:27], v[8:9], -v[16:17]
	v_mul_f64 v[28:29], v[12:13], -v[20:21]
	v_fma_f64 v[22:23], v[16:17], v[6:7], v[22:23]
	v_fma_f64 v[24:25], v[20:21], v[10:11], v[24:25]
	;; [unrolled: 1-line block ×4, first 2 shown]
	v_add_f64 v[30:31], v[22:23], -v[24:25]
	v_add_f64 v[32:33], v[26:27], -v[28:29]
	v_mul_f64 v[22:23], v[30:31], v[30:31]
	v_fma_f64 v[34:35], v[32:33], v[32:33], v[22:23]
	v_div_scale_f64 v[22:23], s[2:3], v[34:35], v[34:35], 1.0
	v_rcp_f64_e32 v[24:25], v[22:23]
	v_fma_f64 v[26:27], -v[22:23], v[24:25], 1.0
	v_fma_f64 v[24:25], v[24:25], v[26:27], v[24:25]
	v_div_scale_f64 v[26:27], vcc, 1.0, v[34:35], 1.0
	v_fma_f64 v[28:29], -v[22:23], v[24:25], 1.0
	v_fma_f64 v[36:37], v[24:25], v[28:29], v[24:25]
	v_mul_f64 v[38:39], v[26:27], v[36:37]
	v_fma_f64 v[40:41], -v[22:23], v[38:39], v[26:27]
	ds_read_b128 v[22:25], v4
	ds_read_b128 v[26:29], v4 offset:512
	s_waitcnt lgkmcnt(1)
	v_mul_f64 v[46:47], v[12:13], -v[24:25]
	s_waitcnt lgkmcnt(0)
	v_mul_f64 v[42:43], v[18:19], v[28:29]
	v_mul_f64 v[44:45], v[8:9], -v[28:29]
	v_div_fmas_f64 v[4:5], v[40:41], v[36:37], v[38:39]
	v_mul_f64 v[36:37], v[24:25], -v[16:17]
	v_mul_f64 v[38:39], v[14:15], v[24:25]
	v_mul_f64 v[40:41], v[28:29], -v[20:21]
	v_mul_f64 v[8:9], v[8:9], v[26:27]
	v_mul_f64 v[12:13], v[12:13], v[22:23]
	v_fma_f64 v[20:21], v[20:21], v[26:27], v[42:43]
	v_fma_f64 v[14:15], v[14:15], v[22:23], v[36:37]
	;; [unrolled: 1-line block ×4, first 2 shown]
	v_fma_f64 v[36:37], v[32:33], 0, -v[30:31]
	v_fma_f64 v[26:27], v[26:27], v[6:7], v[44:45]
	v_fma_f64 v[6:7], v[28:29], v[6:7], v[8:9]
	v_fma_f64 v[8:9], v[24:25], v[10:11], v[12:13]
	v_div_fixup_f64 v[4:5], v[4:5], v[34:35], 1.0
	v_fma_f64 v[10:11], v[22:23], v[10:11], v[46:47]
	v_add_f64 v[12:13], v[16:17], -v[20:21]
	v_fma_f64 v[16:17], v[30:31], 0, v[32:33]
	v_add_f64 v[14:15], v[14:15], -v[18:19]
	v_add_f64 v[18:19], v[6:7], -v[8:9]
	v_mul_f64 v[20:21], v[36:37], v[4:5]
	v_add_f64 v[8:9], v[26:27], -v[10:11]
	v_mul_f64 v[10:11], v[16:17], v[4:5]
	v_mul_f64 v[4:5], v[20:21], -v[12:13]
	v_mul_f64 v[6:7], v[20:21], v[14:15]
	v_mul_f64 v[16:17], v[20:21], -v[18:19]
	v_mul_f64 v[20:21], v[20:21], v[8:9]
	v_fma_f64 v[4:5], v[14:15], v[10:11], v[4:5]
	v_fma_f64 v[6:7], v[12:13], v[10:11], v[6:7]
	;; [unrolled: 1-line block ×4, first 2 shown]
	ds_write_b128 v3, v[4:7] offset:3120
	ds_write_b128 v3, v[8:11] offset:3632
.LBB80_2:
	s_or_b64 exec, exec, s[0:1]
	v_mov_b32_e32 v3, 0xc30
	v_lshl_add_u32 v0, v0, 4, v3
	s_waitcnt lgkmcnt(0)
	; wave barrier
	ds_read2_b64 v[3:6], v0 offset1:1
	s_waitcnt lgkmcnt(0)
	global_store_dwordx4 v[1:2], v[3:6], off
	s_endpgm
	.section	.rodata,"a",@progbits
	.p2align	6, 0x0
	.amdhsa_kernel _ZN9rocsparseL35gtsv_nopivot_pcr_pow2_shared_kernelILj64E21rocsparse_complex_numIdEEEviiiPKT0_S5_S5_PS3_
		.amdhsa_group_segment_fixed_size 5200
		.amdhsa_private_segment_fixed_size 0
		.amdhsa_kernarg_size 48
		.amdhsa_user_sgpr_count 6
		.amdhsa_user_sgpr_private_segment_buffer 1
		.amdhsa_user_sgpr_dispatch_ptr 0
		.amdhsa_user_sgpr_queue_ptr 0
		.amdhsa_user_sgpr_kernarg_segment_ptr 1
		.amdhsa_user_sgpr_dispatch_id 0
		.amdhsa_user_sgpr_flat_scratch_init 0
		.amdhsa_user_sgpr_private_segment_size 0
		.amdhsa_uses_dynamic_stack 0
		.amdhsa_system_sgpr_private_segment_wavefront_offset 0
		.amdhsa_system_sgpr_workgroup_id_x 1
		.amdhsa_system_sgpr_workgroup_id_y 0
		.amdhsa_system_sgpr_workgroup_id_z 0
		.amdhsa_system_sgpr_workgroup_info 0
		.amdhsa_system_vgpr_workitem_id 0
		.amdhsa_next_free_vgpr 66
		.amdhsa_next_free_sgpr 98
		.amdhsa_reserve_vcc 1
		.amdhsa_reserve_flat_scratch 0
		.amdhsa_float_round_mode_32 0
		.amdhsa_float_round_mode_16_64 0
		.amdhsa_float_denorm_mode_32 3
		.amdhsa_float_denorm_mode_16_64 3
		.amdhsa_dx10_clamp 1
		.amdhsa_ieee_mode 1
		.amdhsa_fp16_overflow 0
		.amdhsa_exception_fp_ieee_invalid_op 0
		.amdhsa_exception_fp_denorm_src 0
		.amdhsa_exception_fp_ieee_div_zero 0
		.amdhsa_exception_fp_ieee_overflow 0
		.amdhsa_exception_fp_ieee_underflow 0
		.amdhsa_exception_fp_ieee_inexact 0
		.amdhsa_exception_int_div_zero 0
	.end_amdhsa_kernel
	.section	.text._ZN9rocsparseL35gtsv_nopivot_pcr_pow2_shared_kernelILj64E21rocsparse_complex_numIdEEEviiiPKT0_S5_S5_PS3_,"axG",@progbits,_ZN9rocsparseL35gtsv_nopivot_pcr_pow2_shared_kernelILj64E21rocsparse_complex_numIdEEEviiiPKT0_S5_S5_PS3_,comdat
.Lfunc_end80:
	.size	_ZN9rocsparseL35gtsv_nopivot_pcr_pow2_shared_kernelILj64E21rocsparse_complex_numIdEEEviiiPKT0_S5_S5_PS3_, .Lfunc_end80-_ZN9rocsparseL35gtsv_nopivot_pcr_pow2_shared_kernelILj64E21rocsparse_complex_numIdEEEviiiPKT0_S5_S5_PS3_
                                        ; -- End function
	.set _ZN9rocsparseL35gtsv_nopivot_pcr_pow2_shared_kernelILj64E21rocsparse_complex_numIdEEEviiiPKT0_S5_S5_PS3_.num_vgpr, 66
	.set _ZN9rocsparseL35gtsv_nopivot_pcr_pow2_shared_kernelILj64E21rocsparse_complex_numIdEEEviiiPKT0_S5_S5_PS3_.num_agpr, 0
	.set _ZN9rocsparseL35gtsv_nopivot_pcr_pow2_shared_kernelILj64E21rocsparse_complex_numIdEEEviiiPKT0_S5_S5_PS3_.numbered_sgpr, 16
	.set _ZN9rocsparseL35gtsv_nopivot_pcr_pow2_shared_kernelILj64E21rocsparse_complex_numIdEEEviiiPKT0_S5_S5_PS3_.num_named_barrier, 0
	.set _ZN9rocsparseL35gtsv_nopivot_pcr_pow2_shared_kernelILj64E21rocsparse_complex_numIdEEEviiiPKT0_S5_S5_PS3_.private_seg_size, 0
	.set _ZN9rocsparseL35gtsv_nopivot_pcr_pow2_shared_kernelILj64E21rocsparse_complex_numIdEEEviiiPKT0_S5_S5_PS3_.uses_vcc, 1
	.set _ZN9rocsparseL35gtsv_nopivot_pcr_pow2_shared_kernelILj64E21rocsparse_complex_numIdEEEviiiPKT0_S5_S5_PS3_.uses_flat_scratch, 0
	.set _ZN9rocsparseL35gtsv_nopivot_pcr_pow2_shared_kernelILj64E21rocsparse_complex_numIdEEEviiiPKT0_S5_S5_PS3_.has_dyn_sized_stack, 0
	.set _ZN9rocsparseL35gtsv_nopivot_pcr_pow2_shared_kernelILj64E21rocsparse_complex_numIdEEEviiiPKT0_S5_S5_PS3_.has_recursion, 0
	.set _ZN9rocsparseL35gtsv_nopivot_pcr_pow2_shared_kernelILj64E21rocsparse_complex_numIdEEEviiiPKT0_S5_S5_PS3_.has_indirect_call, 0
	.section	.AMDGPU.csdata,"",@progbits
; Kernel info:
; codeLenInByte = 4380
; TotalNumSgprs: 20
; NumVgprs: 66
; ScratchSize: 0
; MemoryBound: 0
; FloatMode: 240
; IeeeMode: 1
; LDSByteSize: 5200 bytes/workgroup (compile time only)
; SGPRBlocks: 12
; VGPRBlocks: 16
; NumSGPRsForWavesPerEU: 102
; NumVGPRsForWavesPerEU: 66
; Occupancy: 3
; WaveLimiterHint : 0
; COMPUTE_PGM_RSRC2:SCRATCH_EN: 0
; COMPUTE_PGM_RSRC2:USER_SGPR: 6
; COMPUTE_PGM_RSRC2:TRAP_HANDLER: 0
; COMPUTE_PGM_RSRC2:TGID_X_EN: 1
; COMPUTE_PGM_RSRC2:TGID_Y_EN: 0
; COMPUTE_PGM_RSRC2:TGID_Z_EN: 0
; COMPUTE_PGM_RSRC2:TIDIG_COMP_CNT: 0
	.section	.text._ZN9rocsparseL37gtsv_nopivot_crpcr_pow2_shared_kernelILj64ELj64E21rocsparse_complex_numIdEEEviiiPKT1_S5_S5_PS3_,"axG",@progbits,_ZN9rocsparseL37gtsv_nopivot_crpcr_pow2_shared_kernelILj64ELj64E21rocsparse_complex_numIdEEEviiiPKT1_S5_S5_PS3_,comdat
	.globl	_ZN9rocsparseL37gtsv_nopivot_crpcr_pow2_shared_kernelILj64ELj64E21rocsparse_complex_numIdEEEviiiPKT1_S5_S5_PS3_ ; -- Begin function _ZN9rocsparseL37gtsv_nopivot_crpcr_pow2_shared_kernelILj64ELj64E21rocsparse_complex_numIdEEEviiiPKT1_S5_S5_PS3_
	.p2align	8
	.type	_ZN9rocsparseL37gtsv_nopivot_crpcr_pow2_shared_kernelILj64ELj64E21rocsparse_complex_numIdEEEviiiPKT1_S5_S5_PS3_,@function
_ZN9rocsparseL37gtsv_nopivot_crpcr_pow2_shared_kernelILj64ELj64E21rocsparse_complex_numIdEEEviiiPKT1_S5_S5_PS3_: ; @_ZN9rocsparseL37gtsv_nopivot_crpcr_pow2_shared_kernelILj64ELj64E21rocsparse_complex_numIdEEEviiiPKT1_S5_S5_PS3_
; %bb.0:
	s_load_dwordx8 s[8:15], s[4:5], 0x10
	s_load_dword s0, s[4:5], 0x8
	v_mov_b32_e32 v2, 0
	v_lshlrev_b32_e32 v21, 4, v0
	v_or_b32_e32 v16, 0xc00, v21
	s_waitcnt lgkmcnt(0)
	v_mov_b32_e32 v3, s15
	s_mul_i32 s0, s0, s6
	v_add_u32_e32 v1, s0, v0
	v_lshlrev_b64 v[17:18], 4, v[1:2]
	v_add_u32_e32 v1, 64, v1
	v_add_co_u32_e32 v17, vcc, s14, v17
	v_lshlrev_b64 v[1:2], 4, v[1:2]
	v_addc_co_u32_e32 v18, vcc, v3, v18, vcc
	v_add_co_u32_e32 v19, vcc, s14, v1
	global_load_dwordx4 v[4:7], v21, s[8:9]
	global_load_dwordx4 v[8:11], v21, s[10:11]
	global_load_dwordx4 v[12:15], v21, s[8:9] offset:1024
	global_load_dwordx4 v[22:25], v21, s[12:13]
	global_load_dwordx4 v[26:29], v21, s[10:11] offset:1024
	global_load_dwordx4 v[30:33], v21, s[12:13] offset:1024
	v_addc_co_u32_e32 v20, vcc, v3, v2, vcc
	global_load_dwordx4 v[34:37], v[17:18], off
	global_load_dwordx4 v[38:41], v[19:20], off
	v_cmp_gt_u32_e64 s[0:1], 64, v0
	v_or_b32_e32 v3, 0x800, v21
	v_or_b32_e32 v2, 0x1000, v21
	;; [unrolled: 1-line block ×5, first 2 shown]
	s_waitcnt vmcnt(7)
	ds_write2_b64 v21, v[4:5], v[6:7] offset1:1
	s_waitcnt vmcnt(5)
	ds_write2_b64 v21, v[12:13], v[14:15] offset0:128 offset1:129
	ds_write2_b64 v3, v[8:9], v[10:11] offset1:1
	s_waitcnt vmcnt(3)
	ds_write2_b64 v16, v[26:27], v[28:29] offset1:1
	ds_write2_b64 v2, v[22:23], v[24:25] offset1:1
	s_waitcnt vmcnt(2)
	ds_write2_b64 v42, v[30:31], v[32:33] offset1:1
	s_waitcnt vmcnt(1)
	;; [unrolled: 2-line block ×3, first 2 shown]
	ds_write2_b64 v43, v[38:39], v[40:41] offset1:1
	v_lshlrev_b32_e32 v22, 1, v0
	s_waitcnt lgkmcnt(0)
	; wave barrier
	s_and_saveexec_b64 s[4:5], s[0:1]
	s_cbranch_execz .LBB81_2
; %bb.1:
	v_add_u32_e32 v67, v3, v21
	ds_read_b128 v[3:6], v67
	ds_read_b128 v[7:10], v67 offset:16
	v_min_u32_e32 v11, 0x7d, v22
	v_lshlrev_b32_e32 v51, 4, v11
	ds_read_b128 v[11:14], v51 offset:2080
	ds_read_b128 v[23:26], v51 offset:32
	s_waitcnt lgkmcnt(3)
	v_mul_f64 v[15:16], v[5:6], v[5:6]
	v_add_u32_e32 v68, v21, v21
	v_add_u32_e32 v69, v2, v21
	s_waitcnt lgkmcnt(1)
	v_mul_f64 v[27:28], v[13:14], v[13:14]
	v_add_u32_e32 v70, v1, v21
	v_fma_f64 v[15:16], v[3:4], v[3:4], v[15:16]
	v_fma_f64 v[39:40], v[11:12], v[11:12], v[27:28]
	v_div_scale_f64 v[27:28], s[2:3], v[15:16], v[15:16], 1.0
	v_div_scale_f64 v[29:30], s[2:3], v[39:40], v[39:40], 1.0
	v_div_scale_f64 v[41:42], s[2:3], 1.0, v[39:40], 1.0
	v_rcp_f64_e32 v[31:32], v[27:28]
	v_rcp_f64_e32 v[33:34], v[29:30]
	v_fma_f64 v[35:36], -v[27:28], v[31:32], 1.0
	v_fma_f64 v[37:38], -v[29:30], v[33:34], 1.0
	v_fma_f64 v[31:32], v[31:32], v[35:36], v[31:32]
	v_div_scale_f64 v[35:36], vcc, 1.0, v[15:16], 1.0
	v_fma_f64 v[33:34], v[33:34], v[37:38], v[33:34]
	v_fma_f64 v[37:38], -v[27:28], v[31:32], 1.0
	v_fma_f64 v[43:44], -v[29:30], v[33:34], 1.0
	v_fma_f64 v[31:32], v[31:32], v[37:38], v[31:32]
	v_fma_f64 v[33:34], v[33:34], v[43:44], v[33:34]
	v_mul_f64 v[37:38], v[35:36], v[31:32]
	v_mul_f64 v[43:44], v[41:42], v[33:34]
	v_fma_f64 v[27:28], -v[27:28], v[37:38], v[35:36]
	v_fma_f64 v[35:36], -v[29:30], v[43:44], v[41:42]
	v_div_fmas_f64 v[37:38], v[27:28], v[31:32], v[37:38]
	ds_read_b128 v[27:30], v68 offset:16
	s_mov_b64 vcc, s[2:3]
	v_div_fmas_f64 v[41:42], v[35:36], v[33:34], v[43:44]
	ds_read_b128 v[31:34], v69 offset:16
	s_waitcnt lgkmcnt(1)
	v_mul_f64 v[35:36], v[5:6], -v[27:28]
	v_mul_f64 v[5:6], v[5:6], v[29:30]
	s_waitcnt lgkmcnt(0)
	v_mul_f64 v[43:44], v[13:14], -v[31:32]
	v_mul_f64 v[45:46], v[13:14], v[33:34]
	v_fma_f64 v[29:30], v[29:30], v[3:4], v[35:36]
	v_fma_f64 v[5:6], v[27:28], v[3:4], v[5:6]
	v_div_fixup_f64 v[47:48], v[37:38], v[15:16], 1.0
	v_fma_f64 v[43:44], v[33:34], v[11:12], v[43:44]
	v_fma_f64 v[11:12], v[31:32], v[11:12], v[45:46]
	v_div_fixup_f64 v[49:50], v[41:42], v[39:40], 1.0
	ds_read_b128 v[13:16], v68
	ds_read_b128 v[35:38], v69
	v_mul_f64 v[45:46], v[47:48], v[29:30]
	ds_read_b128 v[1:4], v70
	ds_read_b128 v[27:30], v70 offset:16
	ds_read_b128 v[31:34], v51 offset:8224
	;; [unrolled: 1-line block ×3, first 2 shown]
	v_mul_f64 v[5:6], v[47:48], v[5:6]
	v_mul_f64 v[43:44], v[49:50], v[43:44]
	v_mul_f64 v[47:48], v[49:50], v[11:12]
	s_waitcnt lgkmcnt(4)
	v_mul_f64 v[11:12], v[45:46], -v[37:38]
	v_mul_f64 v[49:50], v[45:46], v[35:36]
	s_waitcnt lgkmcnt(3)
	v_mul_f64 v[51:52], v[45:46], -v[3:4]
	v_mul_f64 v[53:54], v[45:46], v[1:2]
	v_mul_f64 v[57:58], v[43:44], -v[25:26]
	v_mul_f64 v[59:60], v[43:44], v[23:24]
	s_waitcnt lgkmcnt(1)
	v_mul_f64 v[61:62], v[43:44], -v[33:34]
	v_mul_f64 v[63:64], v[43:44], v[31:32]
	v_fma_f64 v[11:12], v[35:36], v[5:6], v[11:12]
	v_fma_f64 v[35:36], v[37:38], v[5:6], v[49:50]
	;; [unrolled: 1-line block ×4, first 2 shown]
	v_mul_f64 v[55:56], v[45:46], v[15:16]
	v_mul_f64 v[45:46], v[45:46], -v[13:14]
	v_fma_f64 v[23:24], v[23:24], v[47:48], v[57:58]
	v_fma_f64 v[25:26], v[25:26], v[47:48], v[59:60]
	v_add_f64 v[7:8], v[7:8], -v[11:12]
	v_add_f64 v[11:12], v[9:10], -v[35:36]
	v_fma_f64 v[31:32], v[31:32], v[47:48], v[61:62]
	v_fma_f64 v[33:34], v[33:34], v[47:48], v[63:64]
	v_add_f64 v[27:28], v[27:28], -v[1:2]
	v_add_f64 v[29:30], v[29:30], -v[3:4]
	s_waitcnt lgkmcnt(0)
	v_mul_f64 v[65:66], v[43:44], v[41:42]
	v_mul_f64 v[35:36], v[43:44], -v[39:40]
	v_fma_f64 v[1:2], -v[13:14], v[5:6], v[55:56]
	v_fma_f64 v[3:4], -v[15:16], v[5:6], v[45:46]
	v_add_f64 v[9:10], v[7:8], -v[23:24]
	v_add_f64 v[11:12], v[11:12], -v[25:26]
	;; [unrolled: 1-line block ×4, first 2 shown]
	v_fma_f64 v[5:6], -v[39:40], v[47:48], v[65:66]
	v_fma_f64 v[7:8], -v[41:42], v[47:48], v[35:36]
	ds_write_b128 v68, v[1:4] offset:16
	ds_write_b128 v67, v[9:12] offset:16
	;; [unrolled: 1-line block ×4, first 2 shown]
.LBB81_2:
	s_or_b64 exec, exec, s[4:5]
	v_lshlrev_b32_e32 v23, 5, v0
	s_waitcnt lgkmcnt(0)
	; wave barrier
	s_and_saveexec_b64 s[2:3], s[0:1]
	s_cbranch_execz .LBB81_4
; %bb.3:
	ds_read_b128 v[1:4], v23 offset:16
	ds_read_b128 v[5:8], v23 offset:2064
	;; [unrolled: 1-line block ×4, first 2 shown]
	s_waitcnt lgkmcnt(3)
	ds_write_b128 v21, v[1:4] offset:10240
	s_waitcnt lgkmcnt(3)
	ds_write_b128 v21, v[5:8] offset:11264
	s_waitcnt lgkmcnt(3)
	ds_write_b128 v21, v[9:12] offset:12288
	s_waitcnt lgkmcnt(3)
	ds_write_b128 v21, v[13:16] offset:14336
.LBB81_4:
	s_or_b64 exec, exec, s[2:3]
	v_or_b32_e32 v26, 0x2800, v21
	v_or_b32_e32 v25, 0x3000, v21
	;; [unrolled: 1-line block ×4, first 2 shown]
	s_waitcnt lgkmcnt(0)
	; wave barrier
                                        ; implicit-def: $vgpr13_vgpr14
                                        ; implicit-def: $vgpr5_vgpr6
                                        ; implicit-def: $vgpr9_vgpr10
                                        ; implicit-def: $vgpr1_vgpr2
	s_and_saveexec_b64 s[4:5], s[0:1]
	s_cbranch_execz .LBB81_6
; %bb.5:
	v_sub_u32_e64 v1, v0, 1 clamp
	v_lshlrev_b32_e32 v56, 4, v1
	ds_read_b128 v[1:4], v56 offset:11264
	v_min_u32_e32 v5, 62, v0
	v_lshlrev_b32_e32 v57, 4, v5
	ds_read_b128 v[5:8], v56 offset:10240
	ds_read_b128 v[9:12], v57 offset:11280
	;; [unrolled: 1-line block ×3, first 2 shown]
	s_waitcnt lgkmcnt(3)
	v_mul_f64 v[28:29], v[3:4], v[3:4]
	s_waitcnt lgkmcnt(1)
	v_mul_f64 v[30:31], v[11:12], v[11:12]
	v_fma_f64 v[36:37], v[1:2], v[1:2], v[28:29]
	v_fma_f64 v[44:45], v[9:10], v[9:10], v[30:31]
	v_div_scale_f64 v[28:29], s[2:3], v[36:37], v[36:37], 1.0
	v_div_scale_f64 v[30:31], s[2:3], v[44:45], v[44:45], 1.0
	v_div_scale_f64 v[42:43], s[2:3], 1.0, v[44:45], 1.0
	v_rcp_f64_e32 v[32:33], v[28:29]
	v_rcp_f64_e32 v[34:35], v[30:31]
	v_fma_f64 v[38:39], -v[28:29], v[32:33], 1.0
	v_fma_f64 v[40:41], -v[30:31], v[34:35], 1.0
	v_fma_f64 v[32:33], v[32:33], v[38:39], v[32:33]
	v_div_scale_f64 v[38:39], vcc, 1.0, v[36:37], 1.0
	v_fma_f64 v[34:35], v[34:35], v[40:41], v[34:35]
	v_fma_f64 v[40:41], -v[28:29], v[32:33], 1.0
	v_fma_f64 v[46:47], -v[30:31], v[34:35], 1.0
	v_fma_f64 v[32:33], v[32:33], v[40:41], v[32:33]
	v_fma_f64 v[40:41], v[34:35], v[46:47], v[34:35]
	v_mul_f64 v[34:35], v[38:39], v[32:33]
	v_mul_f64 v[46:47], v[42:43], v[40:41]
	v_fma_f64 v[28:29], -v[28:29], v[34:35], v[38:39]
	v_fma_f64 v[38:39], -v[30:31], v[46:47], v[42:43]
	v_div_fmas_f64 v[42:43], v[28:29], v[32:33], v[34:35]
	ds_read_b128 v[28:31], v26
	ds_read_b128 v[32:35], v25
	s_mov_b64 vcc, s[2:3]
	v_div_fmas_f64 v[46:47], v[38:39], v[40:41], v[46:47]
	s_waitcnt lgkmcnt(1)
	v_mul_f64 v[38:39], v[3:4], -v[28:29]
	v_mul_f64 v[3:4], v[3:4], v[30:31]
	s_waitcnt lgkmcnt(0)
	v_mul_f64 v[48:49], v[11:12], -v[32:33]
	v_mul_f64 v[11:12], v[11:12], v[34:35]
	v_fma_f64 v[30:31], v[30:31], v[1:2], v[38:39]
	v_fma_f64 v[52:53], v[28:29], v[1:2], v[3:4]
	;; [unrolled: 1-line block ×3, first 2 shown]
	v_div_fixup_f64 v[50:51], v[42:43], v[36:37], 1.0
	ds_read_b128 v[36:39], v27
	ds_read_b128 v[40:43], v24
	v_div_fixup_f64 v[44:45], v[46:47], v[44:45], 1.0
	v_fma_f64 v[46:47], v[32:33], v[9:10], v[11:12]
	v_mul_f64 v[54:55], v[50:51], v[30:31]
	ds_read_b128 v[1:4], v56 offset:12288
	ds_read_b128 v[9:12], v56 offset:14336
	;; [unrolled: 1-line block ×4, first 2 shown]
	v_mul_f64 v[50:51], v[50:51], v[52:53]
	v_mul_f64 v[48:49], v[44:45], v[48:49]
	;; [unrolled: 1-line block ×3, first 2 shown]
	s_waitcnt lgkmcnt(3)
	v_mul_f64 v[46:47], v[54:55], -v[3:4]
	v_mul_f64 v[52:53], v[54:55], v[1:2]
	s_waitcnt lgkmcnt(2)
	v_mul_f64 v[56:57], v[54:55], -v[11:12]
	v_mul_f64 v[58:59], v[54:55], v[9:10]
	v_mul_f64 v[62:63], v[48:49], -v[15:16]
	v_mul_f64 v[64:65], v[48:49], v[13:14]
	s_waitcnt lgkmcnt(1)
	v_mul_f64 v[66:67], v[48:49], -v[30:31]
	v_mul_f64 v[68:69], v[48:49], v[28:29]
	v_fma_f64 v[1:2], v[1:2], v[50:51], v[46:47]
	v_fma_f64 v[3:4], v[3:4], v[50:51], v[52:53]
	v_fma_f64 v[9:10], v[9:10], v[50:51], v[56:57]
	v_fma_f64 v[11:12], v[11:12], v[50:51], v[58:59]
	v_mul_f64 v[60:61], v[54:55], v[7:8]
	v_mul_f64 v[54:55], v[54:55], -v[5:6]
	s_waitcnt lgkmcnt(0)
	v_mul_f64 v[70:71], v[48:49], v[34:35]
	v_fma_f64 v[13:14], v[13:14], v[44:45], v[62:63]
	v_fma_f64 v[15:16], v[15:16], v[44:45], v[64:65]
	;; [unrolled: 1-line block ×4, first 2 shown]
	v_add_f64 v[36:37], v[36:37], -v[1:2]
	v_add_f64 v[38:39], v[38:39], -v[3:4]
	;; [unrolled: 1-line block ×4, first 2 shown]
	v_mul_f64 v[46:47], v[48:49], -v[32:33]
	v_fma_f64 v[1:2], -v[5:6], v[50:51], v[60:61]
	v_fma_f64 v[3:4], -v[7:8], v[50:51], v[54:55]
	;; [unrolled: 1-line block ×3, first 2 shown]
	v_add_f64 v[9:10], v[36:37], -v[13:14]
	v_add_f64 v[11:12], v[38:39], -v[15:16]
	;; [unrolled: 1-line block ×4, first 2 shown]
	v_fma_f64 v[7:8], -v[34:35], v[44:45], v[46:47]
.LBB81_6:
	s_or_b64 exec, exec, s[4:5]
	; wave barrier
	s_and_saveexec_b64 s[2:3], s[0:1]
	s_cbranch_execz .LBB81_8
; %bb.7:
	ds_write_b128 v27, v[9:12]
	ds_write_b128 v24, v[13:16]
	;; [unrolled: 1-line block ×4, first 2 shown]
.LBB81_8:
	s_or_b64 exec, exec, s[2:3]
	s_waitcnt lgkmcnt(0)
	; wave barrier
	s_and_saveexec_b64 s[4:5], s[0:1]
	s_cbranch_execz .LBB81_10
; %bb.9:
	v_sub_u32_e64 v1, v0, 2 clamp
	v_lshlrev_b32_e32 v56, 4, v1
	ds_read_b128 v[1:4], v56 offset:11264
	v_min_u32_e32 v5, 61, v0
	v_lshlrev_b32_e32 v57, 4, v5
	ds_read_b128 v[5:8], v56 offset:10240
	ds_read_b128 v[9:12], v57 offset:11296
	;; [unrolled: 1-line block ×3, first 2 shown]
	s_waitcnt lgkmcnt(3)
	v_mul_f64 v[28:29], v[3:4], v[3:4]
	s_waitcnt lgkmcnt(1)
	v_mul_f64 v[30:31], v[11:12], v[11:12]
	v_fma_f64 v[36:37], v[1:2], v[1:2], v[28:29]
	v_fma_f64 v[44:45], v[9:10], v[9:10], v[30:31]
	v_div_scale_f64 v[28:29], s[2:3], v[36:37], v[36:37], 1.0
	v_div_scale_f64 v[30:31], s[2:3], v[44:45], v[44:45], 1.0
	v_div_scale_f64 v[42:43], s[2:3], 1.0, v[44:45], 1.0
	v_rcp_f64_e32 v[32:33], v[28:29]
	v_rcp_f64_e32 v[34:35], v[30:31]
	v_fma_f64 v[38:39], -v[28:29], v[32:33], 1.0
	v_fma_f64 v[40:41], -v[30:31], v[34:35], 1.0
	v_fma_f64 v[32:33], v[32:33], v[38:39], v[32:33]
	v_div_scale_f64 v[38:39], vcc, 1.0, v[36:37], 1.0
	v_fma_f64 v[34:35], v[34:35], v[40:41], v[34:35]
	v_fma_f64 v[40:41], -v[28:29], v[32:33], 1.0
	v_fma_f64 v[46:47], -v[30:31], v[34:35], 1.0
	v_fma_f64 v[32:33], v[32:33], v[40:41], v[32:33]
	v_fma_f64 v[40:41], v[34:35], v[46:47], v[34:35]
	v_mul_f64 v[34:35], v[38:39], v[32:33]
	v_mul_f64 v[46:47], v[42:43], v[40:41]
	v_fma_f64 v[28:29], -v[28:29], v[34:35], v[38:39]
	v_fma_f64 v[38:39], -v[30:31], v[46:47], v[42:43]
	v_div_fmas_f64 v[42:43], v[28:29], v[32:33], v[34:35]
	ds_read_b128 v[28:31], v26
	ds_read_b128 v[32:35], v25
	s_mov_b64 vcc, s[2:3]
	v_div_fmas_f64 v[46:47], v[38:39], v[40:41], v[46:47]
	s_waitcnt lgkmcnt(1)
	v_mul_f64 v[38:39], v[3:4], -v[28:29]
	v_mul_f64 v[3:4], v[3:4], v[30:31]
	s_waitcnt lgkmcnt(0)
	v_mul_f64 v[48:49], v[11:12], -v[32:33]
	v_mul_f64 v[11:12], v[11:12], v[34:35]
	v_fma_f64 v[30:31], v[30:31], v[1:2], v[38:39]
	v_fma_f64 v[52:53], v[28:29], v[1:2], v[3:4]
	;; [unrolled: 1-line block ×3, first 2 shown]
	v_div_fixup_f64 v[50:51], v[42:43], v[36:37], 1.0
	ds_read_b128 v[36:39], v27
	ds_read_b128 v[40:43], v24
	v_div_fixup_f64 v[44:45], v[46:47], v[44:45], 1.0
	v_fma_f64 v[46:47], v[32:33], v[9:10], v[11:12]
	v_mul_f64 v[54:55], v[50:51], v[30:31]
	ds_read_b128 v[1:4], v56 offset:12288
	ds_read_b128 v[9:12], v56 offset:14336
	;; [unrolled: 1-line block ×4, first 2 shown]
	v_mul_f64 v[50:51], v[50:51], v[52:53]
	v_mul_f64 v[48:49], v[44:45], v[48:49]
	;; [unrolled: 1-line block ×3, first 2 shown]
	s_waitcnt lgkmcnt(3)
	v_mul_f64 v[46:47], v[54:55], -v[3:4]
	v_mul_f64 v[52:53], v[54:55], v[1:2]
	s_waitcnt lgkmcnt(2)
	v_mul_f64 v[56:57], v[54:55], -v[11:12]
	v_mul_f64 v[58:59], v[54:55], v[9:10]
	v_mul_f64 v[62:63], v[48:49], -v[15:16]
	v_mul_f64 v[64:65], v[48:49], v[13:14]
	s_waitcnt lgkmcnt(1)
	v_mul_f64 v[66:67], v[48:49], -v[30:31]
	v_mul_f64 v[68:69], v[48:49], v[28:29]
	v_fma_f64 v[1:2], v[1:2], v[50:51], v[46:47]
	v_fma_f64 v[3:4], v[3:4], v[50:51], v[52:53]
	;; [unrolled: 1-line block ×4, first 2 shown]
	v_mul_f64 v[60:61], v[54:55], v[7:8]
	v_mul_f64 v[54:55], v[54:55], -v[5:6]
	s_waitcnt lgkmcnt(0)
	v_mul_f64 v[70:71], v[48:49], v[34:35]
	v_fma_f64 v[13:14], v[13:14], v[44:45], v[62:63]
	v_fma_f64 v[15:16], v[15:16], v[44:45], v[64:65]
	;; [unrolled: 1-line block ×4, first 2 shown]
	v_add_f64 v[36:37], v[36:37], -v[1:2]
	v_add_f64 v[38:39], v[38:39], -v[3:4]
	;; [unrolled: 1-line block ×4, first 2 shown]
	v_mul_f64 v[46:47], v[48:49], -v[32:33]
	v_fma_f64 v[1:2], -v[5:6], v[50:51], v[60:61]
	v_fma_f64 v[3:4], -v[7:8], v[50:51], v[54:55]
	v_fma_f64 v[5:6], -v[32:33], v[44:45], v[70:71]
	v_add_f64 v[9:10], v[36:37], -v[13:14]
	v_add_f64 v[11:12], v[38:39], -v[15:16]
	;; [unrolled: 1-line block ×4, first 2 shown]
	v_fma_f64 v[7:8], -v[34:35], v[44:45], v[46:47]
.LBB81_10:
	s_or_b64 exec, exec, s[4:5]
	; wave barrier
	s_and_saveexec_b64 s[2:3], s[0:1]
	s_cbranch_execz .LBB81_12
; %bb.11:
	ds_write_b128 v27, v[9:12]
	ds_write_b128 v24, v[13:16]
	;; [unrolled: 1-line block ×4, first 2 shown]
.LBB81_12:
	s_or_b64 exec, exec, s[2:3]
	s_waitcnt lgkmcnt(0)
	; wave barrier
	s_and_saveexec_b64 s[4:5], s[0:1]
	s_cbranch_execz .LBB81_14
; %bb.13:
	v_sub_u32_e64 v1, v0, 4 clamp
	v_lshlrev_b32_e32 v56, 4, v1
	ds_read_b128 v[1:4], v56 offset:11264
	v_min_u32_e32 v5, 59, v0
	v_lshlrev_b32_e32 v57, 4, v5
	ds_read_b128 v[5:8], v56 offset:10240
	ds_read_b128 v[9:12], v57 offset:11328
	;; [unrolled: 1-line block ×3, first 2 shown]
	s_waitcnt lgkmcnt(3)
	v_mul_f64 v[28:29], v[3:4], v[3:4]
	s_waitcnt lgkmcnt(1)
	v_mul_f64 v[30:31], v[11:12], v[11:12]
	v_fma_f64 v[36:37], v[1:2], v[1:2], v[28:29]
	v_fma_f64 v[44:45], v[9:10], v[9:10], v[30:31]
	v_div_scale_f64 v[28:29], s[2:3], v[36:37], v[36:37], 1.0
	v_div_scale_f64 v[30:31], s[2:3], v[44:45], v[44:45], 1.0
	v_div_scale_f64 v[42:43], s[2:3], 1.0, v[44:45], 1.0
	v_rcp_f64_e32 v[32:33], v[28:29]
	v_rcp_f64_e32 v[34:35], v[30:31]
	v_fma_f64 v[38:39], -v[28:29], v[32:33], 1.0
	v_fma_f64 v[40:41], -v[30:31], v[34:35], 1.0
	v_fma_f64 v[32:33], v[32:33], v[38:39], v[32:33]
	v_div_scale_f64 v[38:39], vcc, 1.0, v[36:37], 1.0
	v_fma_f64 v[34:35], v[34:35], v[40:41], v[34:35]
	v_fma_f64 v[40:41], -v[28:29], v[32:33], 1.0
	v_fma_f64 v[46:47], -v[30:31], v[34:35], 1.0
	v_fma_f64 v[32:33], v[32:33], v[40:41], v[32:33]
	v_fma_f64 v[40:41], v[34:35], v[46:47], v[34:35]
	v_mul_f64 v[34:35], v[38:39], v[32:33]
	v_mul_f64 v[46:47], v[42:43], v[40:41]
	v_fma_f64 v[28:29], -v[28:29], v[34:35], v[38:39]
	v_fma_f64 v[38:39], -v[30:31], v[46:47], v[42:43]
	v_div_fmas_f64 v[42:43], v[28:29], v[32:33], v[34:35]
	ds_read_b128 v[28:31], v26
	ds_read_b128 v[32:35], v25
	s_mov_b64 vcc, s[2:3]
	v_div_fmas_f64 v[46:47], v[38:39], v[40:41], v[46:47]
	s_waitcnt lgkmcnt(1)
	v_mul_f64 v[38:39], v[3:4], -v[28:29]
	v_mul_f64 v[3:4], v[3:4], v[30:31]
	s_waitcnt lgkmcnt(0)
	v_mul_f64 v[48:49], v[11:12], -v[32:33]
	v_mul_f64 v[11:12], v[11:12], v[34:35]
	v_fma_f64 v[30:31], v[30:31], v[1:2], v[38:39]
	v_fma_f64 v[52:53], v[28:29], v[1:2], v[3:4]
	;; [unrolled: 1-line block ×3, first 2 shown]
	v_div_fixup_f64 v[50:51], v[42:43], v[36:37], 1.0
	ds_read_b128 v[36:39], v27
	ds_read_b128 v[40:43], v24
	v_div_fixup_f64 v[44:45], v[46:47], v[44:45], 1.0
	v_fma_f64 v[46:47], v[32:33], v[9:10], v[11:12]
	v_mul_f64 v[54:55], v[50:51], v[30:31]
	ds_read_b128 v[1:4], v56 offset:12288
	ds_read_b128 v[9:12], v56 offset:14336
	;; [unrolled: 1-line block ×4, first 2 shown]
	v_mul_f64 v[50:51], v[50:51], v[52:53]
	v_mul_f64 v[48:49], v[44:45], v[48:49]
	;; [unrolled: 1-line block ×3, first 2 shown]
	s_waitcnt lgkmcnt(3)
	v_mul_f64 v[46:47], v[54:55], -v[3:4]
	v_mul_f64 v[52:53], v[54:55], v[1:2]
	s_waitcnt lgkmcnt(2)
	v_mul_f64 v[56:57], v[54:55], -v[11:12]
	v_mul_f64 v[58:59], v[54:55], v[9:10]
	v_mul_f64 v[62:63], v[48:49], -v[15:16]
	v_mul_f64 v[64:65], v[48:49], v[13:14]
	s_waitcnt lgkmcnt(1)
	v_mul_f64 v[66:67], v[48:49], -v[30:31]
	v_mul_f64 v[68:69], v[48:49], v[28:29]
	v_fma_f64 v[1:2], v[1:2], v[50:51], v[46:47]
	v_fma_f64 v[3:4], v[3:4], v[50:51], v[52:53]
	v_fma_f64 v[9:10], v[9:10], v[50:51], v[56:57]
	v_fma_f64 v[11:12], v[11:12], v[50:51], v[58:59]
	v_mul_f64 v[60:61], v[54:55], v[7:8]
	v_mul_f64 v[54:55], v[54:55], -v[5:6]
	s_waitcnt lgkmcnt(0)
	v_mul_f64 v[70:71], v[48:49], v[34:35]
	v_fma_f64 v[13:14], v[13:14], v[44:45], v[62:63]
	v_fma_f64 v[15:16], v[15:16], v[44:45], v[64:65]
	;; [unrolled: 1-line block ×4, first 2 shown]
	v_add_f64 v[36:37], v[36:37], -v[1:2]
	v_add_f64 v[38:39], v[38:39], -v[3:4]
	;; [unrolled: 1-line block ×4, first 2 shown]
	v_mul_f64 v[46:47], v[48:49], -v[32:33]
	v_fma_f64 v[1:2], -v[5:6], v[50:51], v[60:61]
	v_fma_f64 v[3:4], -v[7:8], v[50:51], v[54:55]
	v_fma_f64 v[5:6], -v[32:33], v[44:45], v[70:71]
	v_add_f64 v[9:10], v[36:37], -v[13:14]
	v_add_f64 v[11:12], v[38:39], -v[15:16]
	;; [unrolled: 1-line block ×4, first 2 shown]
	v_fma_f64 v[7:8], -v[34:35], v[44:45], v[46:47]
.LBB81_14:
	s_or_b64 exec, exec, s[4:5]
	; wave barrier
	s_and_saveexec_b64 s[2:3], s[0:1]
	s_cbranch_execz .LBB81_16
; %bb.15:
	ds_write_b128 v27, v[9:12]
	ds_write_b128 v24, v[13:16]
	;; [unrolled: 1-line block ×4, first 2 shown]
.LBB81_16:
	s_or_b64 exec, exec, s[2:3]
	s_waitcnt lgkmcnt(0)
	; wave barrier
	s_and_saveexec_b64 s[4:5], s[0:1]
	s_cbranch_execz .LBB81_18
; %bb.17:
	v_sub_u32_e64 v1, v0, 8 clamp
	v_lshlrev_b32_e32 v56, 4, v1
	ds_read_b128 v[1:4], v56 offset:11264
	v_min_u32_e32 v5, 55, v0
	v_lshlrev_b32_e32 v57, 4, v5
	ds_read_b128 v[5:8], v56 offset:10240
	ds_read_b128 v[9:12], v57 offset:11392
	;; [unrolled: 1-line block ×3, first 2 shown]
	s_waitcnt lgkmcnt(3)
	v_mul_f64 v[28:29], v[3:4], v[3:4]
	s_waitcnt lgkmcnt(1)
	v_mul_f64 v[30:31], v[11:12], v[11:12]
	v_fma_f64 v[36:37], v[1:2], v[1:2], v[28:29]
	v_fma_f64 v[44:45], v[9:10], v[9:10], v[30:31]
	v_div_scale_f64 v[28:29], s[2:3], v[36:37], v[36:37], 1.0
	v_div_scale_f64 v[30:31], s[2:3], v[44:45], v[44:45], 1.0
	v_div_scale_f64 v[42:43], s[2:3], 1.0, v[44:45], 1.0
	v_rcp_f64_e32 v[32:33], v[28:29]
	v_rcp_f64_e32 v[34:35], v[30:31]
	v_fma_f64 v[38:39], -v[28:29], v[32:33], 1.0
	v_fma_f64 v[40:41], -v[30:31], v[34:35], 1.0
	v_fma_f64 v[32:33], v[32:33], v[38:39], v[32:33]
	v_div_scale_f64 v[38:39], vcc, 1.0, v[36:37], 1.0
	v_fma_f64 v[34:35], v[34:35], v[40:41], v[34:35]
	v_fma_f64 v[40:41], -v[28:29], v[32:33], 1.0
	v_fma_f64 v[46:47], -v[30:31], v[34:35], 1.0
	v_fma_f64 v[32:33], v[32:33], v[40:41], v[32:33]
	v_fma_f64 v[40:41], v[34:35], v[46:47], v[34:35]
	v_mul_f64 v[34:35], v[38:39], v[32:33]
	v_mul_f64 v[46:47], v[42:43], v[40:41]
	v_fma_f64 v[28:29], -v[28:29], v[34:35], v[38:39]
	v_fma_f64 v[38:39], -v[30:31], v[46:47], v[42:43]
	v_div_fmas_f64 v[42:43], v[28:29], v[32:33], v[34:35]
	ds_read_b128 v[28:31], v26
	ds_read_b128 v[32:35], v25
	s_mov_b64 vcc, s[2:3]
	v_div_fmas_f64 v[46:47], v[38:39], v[40:41], v[46:47]
	s_waitcnt lgkmcnt(1)
	v_mul_f64 v[38:39], v[3:4], -v[28:29]
	v_mul_f64 v[3:4], v[3:4], v[30:31]
	s_waitcnt lgkmcnt(0)
	v_mul_f64 v[48:49], v[11:12], -v[32:33]
	v_mul_f64 v[11:12], v[11:12], v[34:35]
	v_fma_f64 v[30:31], v[30:31], v[1:2], v[38:39]
	v_fma_f64 v[52:53], v[28:29], v[1:2], v[3:4]
	;; [unrolled: 1-line block ×3, first 2 shown]
	v_div_fixup_f64 v[50:51], v[42:43], v[36:37], 1.0
	ds_read_b128 v[36:39], v27
	ds_read_b128 v[40:43], v24
	v_div_fixup_f64 v[44:45], v[46:47], v[44:45], 1.0
	v_fma_f64 v[46:47], v[32:33], v[9:10], v[11:12]
	v_mul_f64 v[54:55], v[50:51], v[30:31]
	ds_read_b128 v[1:4], v56 offset:12288
	ds_read_b128 v[9:12], v56 offset:14336
	;; [unrolled: 1-line block ×4, first 2 shown]
	v_mul_f64 v[50:51], v[50:51], v[52:53]
	v_mul_f64 v[48:49], v[44:45], v[48:49]
	v_mul_f64 v[44:45], v[44:45], v[46:47]
	s_waitcnt lgkmcnt(3)
	v_mul_f64 v[46:47], v[54:55], -v[3:4]
	v_mul_f64 v[52:53], v[54:55], v[1:2]
	s_waitcnt lgkmcnt(2)
	v_mul_f64 v[56:57], v[54:55], -v[11:12]
	v_mul_f64 v[58:59], v[54:55], v[9:10]
	v_mul_f64 v[62:63], v[48:49], -v[15:16]
	v_mul_f64 v[64:65], v[48:49], v[13:14]
	s_waitcnt lgkmcnt(1)
	v_mul_f64 v[66:67], v[48:49], -v[30:31]
	v_mul_f64 v[68:69], v[48:49], v[28:29]
	v_fma_f64 v[1:2], v[1:2], v[50:51], v[46:47]
	v_fma_f64 v[3:4], v[3:4], v[50:51], v[52:53]
	;; [unrolled: 1-line block ×4, first 2 shown]
	v_mul_f64 v[60:61], v[54:55], v[7:8]
	v_mul_f64 v[54:55], v[54:55], -v[5:6]
	s_waitcnt lgkmcnt(0)
	v_mul_f64 v[70:71], v[48:49], v[34:35]
	v_fma_f64 v[13:14], v[13:14], v[44:45], v[62:63]
	v_fma_f64 v[15:16], v[15:16], v[44:45], v[64:65]
	;; [unrolled: 1-line block ×4, first 2 shown]
	v_add_f64 v[36:37], v[36:37], -v[1:2]
	v_add_f64 v[38:39], v[38:39], -v[3:4]
	;; [unrolled: 1-line block ×4, first 2 shown]
	v_mul_f64 v[46:47], v[48:49], -v[32:33]
	v_fma_f64 v[1:2], -v[5:6], v[50:51], v[60:61]
	v_fma_f64 v[3:4], -v[7:8], v[50:51], v[54:55]
	;; [unrolled: 1-line block ×3, first 2 shown]
	v_add_f64 v[9:10], v[36:37], -v[13:14]
	v_add_f64 v[11:12], v[38:39], -v[15:16]
	v_add_f64 v[13:14], v[40:41], -v[28:29]
	v_add_f64 v[15:16], v[42:43], -v[30:31]
	v_fma_f64 v[7:8], -v[34:35], v[44:45], v[46:47]
.LBB81_18:
	s_or_b64 exec, exec, s[4:5]
	; wave barrier
	s_and_saveexec_b64 s[2:3], s[0:1]
	s_cbranch_execz .LBB81_20
; %bb.19:
	ds_write_b128 v27, v[9:12]
	ds_write_b128 v24, v[13:16]
	;; [unrolled: 1-line block ×4, first 2 shown]
.LBB81_20:
	s_or_b64 exec, exec, s[2:3]
	s_waitcnt lgkmcnt(0)
	; wave barrier
	s_and_saveexec_b64 s[4:5], s[0:1]
	s_cbranch_execz .LBB81_22
; %bb.21:
	v_sub_u32_e64 v1, v0, 16 clamp
	v_lshlrev_b32_e32 v56, 4, v1
	ds_read_b128 v[1:4], v56 offset:11264
	v_min_u32_e32 v5, 47, v0
	v_lshlrev_b32_e32 v57, 4, v5
	ds_read_b128 v[5:8], v56 offset:10240
	ds_read_b128 v[9:12], v57 offset:11520
	;; [unrolled: 1-line block ×3, first 2 shown]
	s_waitcnt lgkmcnt(3)
	v_mul_f64 v[28:29], v[3:4], v[3:4]
	s_waitcnt lgkmcnt(1)
	v_mul_f64 v[30:31], v[11:12], v[11:12]
	v_fma_f64 v[36:37], v[1:2], v[1:2], v[28:29]
	v_fma_f64 v[44:45], v[9:10], v[9:10], v[30:31]
	v_div_scale_f64 v[28:29], s[2:3], v[36:37], v[36:37], 1.0
	v_div_scale_f64 v[30:31], s[2:3], v[44:45], v[44:45], 1.0
	v_div_scale_f64 v[42:43], s[2:3], 1.0, v[44:45], 1.0
	v_rcp_f64_e32 v[32:33], v[28:29]
	v_rcp_f64_e32 v[34:35], v[30:31]
	v_fma_f64 v[38:39], -v[28:29], v[32:33], 1.0
	v_fma_f64 v[40:41], -v[30:31], v[34:35], 1.0
	v_fma_f64 v[32:33], v[32:33], v[38:39], v[32:33]
	v_div_scale_f64 v[38:39], vcc, 1.0, v[36:37], 1.0
	v_fma_f64 v[34:35], v[34:35], v[40:41], v[34:35]
	v_fma_f64 v[40:41], -v[28:29], v[32:33], 1.0
	v_fma_f64 v[46:47], -v[30:31], v[34:35], 1.0
	v_fma_f64 v[32:33], v[32:33], v[40:41], v[32:33]
	v_fma_f64 v[40:41], v[34:35], v[46:47], v[34:35]
	v_mul_f64 v[34:35], v[38:39], v[32:33]
	v_mul_f64 v[46:47], v[42:43], v[40:41]
	v_fma_f64 v[28:29], -v[28:29], v[34:35], v[38:39]
	v_fma_f64 v[38:39], -v[30:31], v[46:47], v[42:43]
	v_div_fmas_f64 v[42:43], v[28:29], v[32:33], v[34:35]
	ds_read_b128 v[28:31], v26
	ds_read_b128 v[32:35], v25
	s_mov_b64 vcc, s[2:3]
	v_div_fmas_f64 v[46:47], v[38:39], v[40:41], v[46:47]
	s_waitcnt lgkmcnt(1)
	v_mul_f64 v[38:39], v[3:4], -v[28:29]
	v_mul_f64 v[3:4], v[3:4], v[30:31]
	s_waitcnt lgkmcnt(0)
	v_mul_f64 v[48:49], v[11:12], -v[32:33]
	v_mul_f64 v[11:12], v[11:12], v[34:35]
	v_fma_f64 v[30:31], v[30:31], v[1:2], v[38:39]
	v_fma_f64 v[52:53], v[28:29], v[1:2], v[3:4]
	;; [unrolled: 1-line block ×3, first 2 shown]
	v_div_fixup_f64 v[50:51], v[42:43], v[36:37], 1.0
	ds_read_b128 v[36:39], v27
	ds_read_b128 v[40:43], v24
	v_div_fixup_f64 v[44:45], v[46:47], v[44:45], 1.0
	v_fma_f64 v[46:47], v[32:33], v[9:10], v[11:12]
	v_mul_f64 v[54:55], v[50:51], v[30:31]
	ds_read_b128 v[1:4], v56 offset:12288
	ds_read_b128 v[9:12], v56 offset:14336
	;; [unrolled: 1-line block ×4, first 2 shown]
	v_mul_f64 v[50:51], v[50:51], v[52:53]
	v_mul_f64 v[48:49], v[44:45], v[48:49]
	;; [unrolled: 1-line block ×3, first 2 shown]
	s_waitcnt lgkmcnt(3)
	v_mul_f64 v[46:47], v[54:55], -v[3:4]
	v_mul_f64 v[52:53], v[54:55], v[1:2]
	s_waitcnt lgkmcnt(2)
	v_mul_f64 v[56:57], v[54:55], -v[11:12]
	v_mul_f64 v[58:59], v[54:55], v[9:10]
	v_mul_f64 v[62:63], v[48:49], -v[15:16]
	v_mul_f64 v[64:65], v[48:49], v[13:14]
	s_waitcnt lgkmcnt(1)
	v_mul_f64 v[66:67], v[48:49], -v[30:31]
	v_mul_f64 v[68:69], v[48:49], v[28:29]
	v_fma_f64 v[1:2], v[1:2], v[50:51], v[46:47]
	v_fma_f64 v[3:4], v[3:4], v[50:51], v[52:53]
	;; [unrolled: 1-line block ×4, first 2 shown]
	v_mul_f64 v[60:61], v[54:55], v[7:8]
	v_mul_f64 v[54:55], v[54:55], -v[5:6]
	s_waitcnt lgkmcnt(0)
	v_mul_f64 v[70:71], v[48:49], v[34:35]
	v_fma_f64 v[13:14], v[13:14], v[44:45], v[62:63]
	v_fma_f64 v[15:16], v[15:16], v[44:45], v[64:65]
	;; [unrolled: 1-line block ×4, first 2 shown]
	v_add_f64 v[36:37], v[36:37], -v[1:2]
	v_add_f64 v[38:39], v[38:39], -v[3:4]
	;; [unrolled: 1-line block ×4, first 2 shown]
	v_mul_f64 v[46:47], v[48:49], -v[32:33]
	v_fma_f64 v[1:2], -v[5:6], v[50:51], v[60:61]
	v_fma_f64 v[3:4], -v[7:8], v[50:51], v[54:55]
	v_fma_f64 v[5:6], -v[32:33], v[44:45], v[70:71]
	v_add_f64 v[9:10], v[36:37], -v[13:14]
	v_add_f64 v[11:12], v[38:39], -v[15:16]
	;; [unrolled: 1-line block ×4, first 2 shown]
	v_fma_f64 v[7:8], -v[34:35], v[44:45], v[46:47]
.LBB81_22:
	s_or_b64 exec, exec, s[4:5]
	; wave barrier
	s_and_saveexec_b64 s[2:3], s[0:1]
	s_cbranch_execz .LBB81_24
; %bb.23:
	ds_write_b128 v27, v[9:12]
	ds_write_b128 v24, v[13:16]
	;; [unrolled: 1-line block ×4, first 2 shown]
.LBB81_24:
	s_or_b64 exec, exec, s[2:3]
	v_cmp_gt_u32_e32 vcc, 32, v0
	s_waitcnt lgkmcnt(0)
	; wave barrier
	s_and_saveexec_b64 s[2:3], vcc
	s_cbranch_execz .LBB81_26
; %bb.25:
	ds_read_b128 v[1:4], v27
	ds_read_b128 v[5:8], v27 offset:512
	ds_read_b128 v[9:12], v26 offset:512
	ds_read_b128 v[13:16], v25
	s_waitcnt lgkmcnt(2)
	v_mul_f64 v[25:26], v[3:4], v[5:6]
	v_mul_f64 v[29:30], v[3:4], -v[7:8]
	s_waitcnt lgkmcnt(0)
	v_mul_f64 v[27:28], v[11:12], v[13:14]
	v_mul_f64 v[31:32], v[11:12], -v[15:16]
	v_fma_f64 v[25:26], v[7:8], v[1:2], v[25:26]
	v_fma_f64 v[29:30], v[5:6], v[1:2], v[29:30]
	;; [unrolled: 1-line block ×4, first 2 shown]
	v_add_f64 v[33:34], v[25:26], -v[27:28]
	v_add_f64 v[35:36], v[29:30], -v[31:32]
	v_mul_f64 v[25:26], v[33:34], v[33:34]
	v_fma_f64 v[37:38], v[35:36], v[35:36], v[25:26]
	v_div_scale_f64 v[25:26], s[4:5], v[37:38], v[37:38], 1.0
	v_rcp_f64_e32 v[27:28], v[25:26]
	v_fma_f64 v[29:30], -v[25:26], v[27:28], 1.0
	v_fma_f64 v[27:28], v[27:28], v[29:30], v[27:28]
	v_div_scale_f64 v[29:30], vcc, 1.0, v[37:38], 1.0
	v_fma_f64 v[31:32], -v[25:26], v[27:28], 1.0
	v_fma_f64 v[39:40], v[27:28], v[31:32], v[27:28]
	v_mul_f64 v[41:42], v[29:30], v[39:40]
	v_fma_f64 v[43:44], -v[25:26], v[41:42], v[29:30]
	ds_read_b128 v[25:28], v24
	ds_read_b128 v[29:32], v24 offset:512
	s_waitcnt lgkmcnt(1)
	v_mul_f64 v[51:52], v[11:12], -v[27:28]
	s_waitcnt lgkmcnt(0)
	v_mul_f64 v[45:46], v[31:32], -v[15:16]
	v_mul_f64 v[47:48], v[13:14], v[31:32]
	v_div_fmas_f64 v[39:40], v[43:44], v[39:40], v[41:42]
	v_mul_f64 v[41:42], v[27:28], -v[7:8]
	v_mul_f64 v[43:44], v[5:6], v[27:28]
	v_mul_f64 v[49:50], v[3:4], -v[31:32]
	v_mul_f64 v[3:4], v[3:4], v[29:30]
	v_mul_f64 v[11:12], v[11:12], v[25:26]
	v_fma_f64 v[13:14], v[13:14], v[29:30], v[45:46]
	v_fma_f64 v[15:16], v[15:16], v[29:30], v[47:48]
	;; [unrolled: 1-line block ×4, first 2 shown]
	v_fma_f64 v[41:42], v[35:36], 0, -v[33:34]
	v_fma_f64 v[29:30], v[29:30], v[1:2], v[49:50]
	v_fma_f64 v[1:2], v[31:32], v[1:2], v[3:4]
	;; [unrolled: 1-line block ×4, first 2 shown]
	v_div_fixup_f64 v[37:38], v[39:40], v[37:38], 1.0
	v_fma_f64 v[11:12], v[33:34], 0, v[35:36]
	v_add_f64 v[7:8], v[7:8], -v[15:16]
	v_add_f64 v[5:6], v[5:6], -v[13:14]
	;; [unrolled: 1-line block ×4, first 2 shown]
	v_mul_f64 v[15:16], v[41:42], v[37:38]
	v_mul_f64 v[11:12], v[11:12], v[37:38]
	v_mul_f64 v[1:2], v[15:16], -v[7:8]
	v_mul_f64 v[3:4], v[15:16], v[5:6]
	v_mul_f64 v[24:25], v[15:16], -v[13:14]
	v_mul_f64 v[15:16], v[15:16], v[9:10]
	v_fma_f64 v[1:2], v[5:6], v[11:12], v[1:2]
	v_fma_f64 v[3:4], v[7:8], v[11:12], v[3:4]
	;; [unrolled: 1-line block ×4, first 2 shown]
	ds_write_b128 v21, v[1:4] offset:13312
	ds_write_b128 v21, v[5:8] offset:13824
.LBB81_26:
	s_or_b64 exec, exec, s[2:3]
	s_waitcnt lgkmcnt(0)
	; wave barrier
	s_and_saveexec_b64 s[2:3], s[0:1]
	s_cbranch_execz .LBB81_28
; %bb.27:
	ds_read_b128 v[1:4], v21 offset:13312
	s_waitcnt lgkmcnt(0)
	ds_write_b128 v23, v[1:4] offset:6160
.LBB81_28:
	s_or_b64 exec, exec, s[2:3]
	s_waitcnt lgkmcnt(0)
	; wave barrier
	s_and_saveexec_b64 s[2:3], s[0:1]
	s_cbranch_execz .LBB81_34
; %bb.29:
	v_mov_b32_e32 v1, 0x2000
	v_cmp_ne_u32_e32 vcc, 0, v0
	v_lshl_or_b32 v3, v0, 5, v1
	v_lshlrev_b32_e32 v2, 4, v22
                                        ; implicit-def: $vgpr0_vgpr1
	s_and_saveexec_b64 s[0:1], vcc
	s_xor_b64 s[0:1], exec, s[0:1]
	s_cbranch_execz .LBB81_31
; %bb.30:
	ds_read_b128 v[4:7], v2 offset:2048
	s_waitcnt lgkmcnt(0)
	v_mul_f64 v[0:1], v[6:7], v[6:7]
	v_fma_f64 v[0:1], v[4:5], v[4:5], v[0:1]
	v_div_scale_f64 v[30:31], s[4:5], v[0:1], v[0:1], 1.0
	v_div_scale_f64 v[34:35], vcc, 1.0, v[0:1], 1.0
	v_rcp_f64_e32 v[8:9], v[30:31]
	v_fma_f64 v[10:11], -v[30:31], v[8:9], 1.0
	v_fma_f64 v[32:33], v[8:9], v[10:11], v[8:9]
	ds_read_b128 v[8:11], v2
	ds_read_b128 v[12:15], v2 offset:6128
	ds_read_b128 v[22:25], v2 offset:6160
	;; [unrolled: 1-line block ×3, first 2 shown]
	s_waitcnt lgkmcnt(0)
	v_mul_f64 v[38:39], v[24:25], -v[28:29]
	v_mul_f64 v[24:25], v[24:25], v[26:27]
	v_fma_f64 v[36:37], -v[30:31], v[32:33], 1.0
	v_fma_f64 v[32:33], v[32:33], v[36:37], v[32:33]
	v_mul_f64 v[36:37], v[14:15], v[8:9]
	v_mul_f64 v[14:15], v[14:15], -v[10:11]
	v_mul_f64 v[40:41], v[34:35], v[32:33]
	v_fma_f64 v[36:37], v[10:11], v[12:13], v[36:37]
	v_fma_f64 v[12:13], v[8:9], v[12:13], v[14:15]
	ds_read_b128 v[8:11], v3
	v_fma_f64 v[14:15], v[26:27], v[22:23], v[38:39]
	v_fma_f64 v[22:23], v[28:29], v[22:23], v[24:25]
	v_fma_f64 v[24:25], -v[30:31], v[40:41], v[34:35]
	s_waitcnt lgkmcnt(0)
	v_add_f64 v[10:11], v[10:11], -v[36:37]
	v_add_f64 v[8:9], v[8:9], -v[12:13]
	v_div_fmas_f64 v[12:13], v[24:25], v[32:33], v[40:41]
	v_add_f64 v[10:11], v[10:11], -v[22:23]
	v_add_f64 v[8:9], v[8:9], -v[14:15]
	v_mul_f64 v[14:15], v[6:7], v[10:11]
	v_mul_f64 v[6:7], v[6:7], -v[8:9]
	v_div_fixup_f64 v[0:1], v[12:13], v[0:1], 1.0
	v_fma_f64 v[8:9], v[8:9], v[4:5], v[14:15]
	v_fma_f64 v[3:4], v[10:11], v[4:5], v[6:7]
	v_mul_f64 v[5:6], v[8:9], v[0:1]
	v_mul_f64 v[0:1], v[0:1], v[3:4]
                                        ; implicit-def: $vgpr3
	ds_write_b64 v2, v[5:6] offset:6144
.LBB81_31:
	s_andn2_saveexec_b64 s[0:1], s[0:1]
	s_cbranch_execz .LBB81_33
; %bb.32:
	ds_read_b128 v[4:7], v2 offset:2048
	s_waitcnt lgkmcnt(0)
	v_mul_f64 v[0:1], v[6:7], v[6:7]
	v_fma_f64 v[0:1], v[4:5], v[4:5], v[0:1]
	v_div_scale_f64 v[26:27], s[4:5], v[0:1], v[0:1], 1.0
	v_div_scale_f64 v[28:29], vcc, 1.0, v[0:1], 1.0
	v_rcp_f64_e32 v[8:9], v[26:27]
	v_fma_f64 v[10:11], -v[26:27], v[8:9], 1.0
	v_fma_f64 v[8:9], v[8:9], v[10:11], v[8:9]
	v_fma_f64 v[10:11], -v[26:27], v[8:9], 1.0
	v_fma_f64 v[30:31], v[8:9], v[10:11], v[8:9]
	ds_read_b128 v[8:11], v2 offset:4096
	ds_read_b128 v[12:15], v2 offset:6160
	ds_read_b128 v[22:25], v3
	s_waitcnt lgkmcnt(1)
	v_mul_f64 v[34:35], v[14:15], v[8:9]
	v_mul_f64 v[14:15], v[14:15], -v[10:11]
	v_mul_f64 v[32:33], v[28:29], v[30:31]
	v_fma_f64 v[10:11], v[10:11], v[12:13], v[34:35]
	v_fma_f64 v[8:9], v[8:9], v[12:13], v[14:15]
	v_fma_f64 v[26:27], -v[26:27], v[32:33], v[28:29]
	s_waitcnt lgkmcnt(0)
	v_add_f64 v[10:11], v[24:25], -v[10:11]
	v_add_f64 v[8:9], v[22:23], -v[8:9]
	v_div_fmas_f64 v[12:13], v[26:27], v[30:31], v[32:33]
	v_mul_f64 v[14:15], v[10:11], v[6:7]
	v_mul_f64 v[6:7], v[6:7], -v[8:9]
	v_fma_f64 v[8:9], v[8:9], v[4:5], v[14:15]
	v_fma_f64 v[3:4], v[10:11], v[4:5], v[6:7]
	v_div_fixup_f64 v[0:1], v[12:13], v[0:1], 1.0
	v_mul_f64 v[5:6], v[8:9], v[0:1]
	v_mul_f64 v[0:1], v[3:4], v[0:1]
	ds_write_b64 v2, v[5:6] offset:6144
.LBB81_33:
	s_or_b64 exec, exec, s[0:1]
	ds_write_b64 v2, v[0:1] offset:6152
.LBB81_34:
	s_or_b64 exec, exec, s[2:3]
	v_or_b32_e32 v0, 0x1800, v21
	v_or_b32_e32 v4, 0x1c00, v21
	s_waitcnt lgkmcnt(0)
	; wave barrier
	ds_read2_b64 v[0:3], v0 offset1:1
	ds_read2_b64 v[4:7], v4 offset1:1
	s_waitcnt lgkmcnt(1)
	global_store_dwordx4 v[17:18], v[0:3], off
	s_waitcnt lgkmcnt(0)
	global_store_dwordx4 v[19:20], v[4:7], off
	s_endpgm
	.section	.rodata,"a",@progbits
	.p2align	6, 0x0
	.amdhsa_kernel _ZN9rocsparseL37gtsv_nopivot_crpcr_pow2_shared_kernelILj64ELj64E21rocsparse_complex_numIdEEEviiiPKT1_S5_S5_PS3_
		.amdhsa_group_segment_fixed_size 15360
		.amdhsa_private_segment_fixed_size 0
		.amdhsa_kernarg_size 48
		.amdhsa_user_sgpr_count 6
		.amdhsa_user_sgpr_private_segment_buffer 1
		.amdhsa_user_sgpr_dispatch_ptr 0
		.amdhsa_user_sgpr_queue_ptr 0
		.amdhsa_user_sgpr_kernarg_segment_ptr 1
		.amdhsa_user_sgpr_dispatch_id 0
		.amdhsa_user_sgpr_flat_scratch_init 0
		.amdhsa_user_sgpr_private_segment_size 0
		.amdhsa_uses_dynamic_stack 0
		.amdhsa_system_sgpr_private_segment_wavefront_offset 0
		.amdhsa_system_sgpr_workgroup_id_x 1
		.amdhsa_system_sgpr_workgroup_id_y 0
		.amdhsa_system_sgpr_workgroup_id_z 0
		.amdhsa_system_sgpr_workgroup_info 0
		.amdhsa_system_vgpr_workitem_id 0
		.amdhsa_next_free_vgpr 129
		.amdhsa_next_free_sgpr 98
		.amdhsa_reserve_vcc 1
		.amdhsa_reserve_flat_scratch 0
		.amdhsa_float_round_mode_32 0
		.amdhsa_float_round_mode_16_64 0
		.amdhsa_float_denorm_mode_32 3
		.amdhsa_float_denorm_mode_16_64 3
		.amdhsa_dx10_clamp 1
		.amdhsa_ieee_mode 1
		.amdhsa_fp16_overflow 0
		.amdhsa_exception_fp_ieee_invalid_op 0
		.amdhsa_exception_fp_denorm_src 0
		.amdhsa_exception_fp_ieee_div_zero 0
		.amdhsa_exception_fp_ieee_overflow 0
		.amdhsa_exception_fp_ieee_underflow 0
		.amdhsa_exception_fp_ieee_inexact 0
		.amdhsa_exception_int_div_zero 0
	.end_amdhsa_kernel
	.section	.text._ZN9rocsparseL37gtsv_nopivot_crpcr_pow2_shared_kernelILj64ELj64E21rocsparse_complex_numIdEEEviiiPKT1_S5_S5_PS3_,"axG",@progbits,_ZN9rocsparseL37gtsv_nopivot_crpcr_pow2_shared_kernelILj64ELj64E21rocsparse_complex_numIdEEEviiiPKT1_S5_S5_PS3_,comdat
.Lfunc_end81:
	.size	_ZN9rocsparseL37gtsv_nopivot_crpcr_pow2_shared_kernelILj64ELj64E21rocsparse_complex_numIdEEEviiiPKT1_S5_S5_PS3_, .Lfunc_end81-_ZN9rocsparseL37gtsv_nopivot_crpcr_pow2_shared_kernelILj64ELj64E21rocsparse_complex_numIdEEEviiiPKT1_S5_S5_PS3_
                                        ; -- End function
	.set _ZN9rocsparseL37gtsv_nopivot_crpcr_pow2_shared_kernelILj64ELj64E21rocsparse_complex_numIdEEEviiiPKT1_S5_S5_PS3_.num_vgpr, 72
	.set _ZN9rocsparseL37gtsv_nopivot_crpcr_pow2_shared_kernelILj64ELj64E21rocsparse_complex_numIdEEEviiiPKT1_S5_S5_PS3_.num_agpr, 0
	.set _ZN9rocsparseL37gtsv_nopivot_crpcr_pow2_shared_kernelILj64ELj64E21rocsparse_complex_numIdEEEviiiPKT1_S5_S5_PS3_.numbered_sgpr, 16
	.set _ZN9rocsparseL37gtsv_nopivot_crpcr_pow2_shared_kernelILj64ELj64E21rocsparse_complex_numIdEEEviiiPKT1_S5_S5_PS3_.num_named_barrier, 0
	.set _ZN9rocsparseL37gtsv_nopivot_crpcr_pow2_shared_kernelILj64ELj64E21rocsparse_complex_numIdEEEviiiPKT1_S5_S5_PS3_.private_seg_size, 0
	.set _ZN9rocsparseL37gtsv_nopivot_crpcr_pow2_shared_kernelILj64ELj64E21rocsparse_complex_numIdEEEviiiPKT1_S5_S5_PS3_.uses_vcc, 1
	.set _ZN9rocsparseL37gtsv_nopivot_crpcr_pow2_shared_kernelILj64ELj64E21rocsparse_complex_numIdEEEviiiPKT1_S5_S5_PS3_.uses_flat_scratch, 0
	.set _ZN9rocsparseL37gtsv_nopivot_crpcr_pow2_shared_kernelILj64ELj64E21rocsparse_complex_numIdEEEviiiPKT1_S5_S5_PS3_.has_dyn_sized_stack, 0
	.set _ZN9rocsparseL37gtsv_nopivot_crpcr_pow2_shared_kernelILj64ELj64E21rocsparse_complex_numIdEEEviiiPKT1_S5_S5_PS3_.has_recursion, 0
	.set _ZN9rocsparseL37gtsv_nopivot_crpcr_pow2_shared_kernelILj64ELj64E21rocsparse_complex_numIdEEEviiiPKT1_S5_S5_PS3_.has_indirect_call, 0
	.section	.AMDGPU.csdata,"",@progbits
; Kernel info:
; codeLenInByte = 6268
; TotalNumSgprs: 20
; NumVgprs: 72
; ScratchSize: 0
; MemoryBound: 0
; FloatMode: 240
; IeeeMode: 1
; LDSByteSize: 15360 bytes/workgroup (compile time only)
; SGPRBlocks: 12
; VGPRBlocks: 32
; NumSGPRsForWavesPerEU: 102
; NumVGPRsForWavesPerEU: 129
; Occupancy: 1
; WaveLimiterHint : 0
; COMPUTE_PGM_RSRC2:SCRATCH_EN: 0
; COMPUTE_PGM_RSRC2:USER_SGPR: 6
; COMPUTE_PGM_RSRC2:TRAP_HANDLER: 0
; COMPUTE_PGM_RSRC2:TGID_X_EN: 1
; COMPUTE_PGM_RSRC2:TGID_Y_EN: 0
; COMPUTE_PGM_RSRC2:TGID_Z_EN: 0
; COMPUTE_PGM_RSRC2:TIDIG_COMP_CNT: 0
	.section	.text._ZN9rocsparseL37gtsv_nopivot_crpcr_pow2_shared_kernelILj128ELj64E21rocsparse_complex_numIdEEEviiiPKT1_S5_S5_PS3_,"axG",@progbits,_ZN9rocsparseL37gtsv_nopivot_crpcr_pow2_shared_kernelILj128ELj64E21rocsparse_complex_numIdEEEviiiPKT1_S5_S5_PS3_,comdat
	.globl	_ZN9rocsparseL37gtsv_nopivot_crpcr_pow2_shared_kernelILj128ELj64E21rocsparse_complex_numIdEEEviiiPKT1_S5_S5_PS3_ ; -- Begin function _ZN9rocsparseL37gtsv_nopivot_crpcr_pow2_shared_kernelILj128ELj64E21rocsparse_complex_numIdEEEviiiPKT1_S5_S5_PS3_
	.p2align	8
	.type	_ZN9rocsparseL37gtsv_nopivot_crpcr_pow2_shared_kernelILj128ELj64E21rocsparse_complex_numIdEEEviiiPKT1_S5_S5_PS3_,@function
_ZN9rocsparseL37gtsv_nopivot_crpcr_pow2_shared_kernelILj128ELj64E21rocsparse_complex_numIdEEEviiiPKT1_S5_S5_PS3_: ; @_ZN9rocsparseL37gtsv_nopivot_crpcr_pow2_shared_kernelILj128ELj64E21rocsparse_complex_numIdEEEviiiPKT1_S5_S5_PS3_
; %bb.0:
	s_load_dwordx8 s[8:15], s[4:5], 0x10
	s_load_dword s0, s[4:5], 0x8
	v_mov_b32_e32 v2, 0
	v_lshlrev_b32_e32 v21, 4, v0
	v_or_b32_e32 v16, 0x1800, v21
	s_waitcnt lgkmcnt(0)
	v_mov_b32_e32 v3, s15
	s_mul_i32 s0, s0, s6
	v_add_u32_e32 v1, s0, v0
	v_lshlrev_b64 v[17:18], 4, v[1:2]
	v_add_u32_e32 v1, 0x80, v1
	v_add_co_u32_e32 v17, vcc, s14, v17
	v_lshlrev_b64 v[1:2], 4, v[1:2]
	v_addc_co_u32_e32 v18, vcc, v3, v18, vcc
	v_add_co_u32_e32 v19, vcc, s14, v1
	global_load_dwordx4 v[4:7], v21, s[8:9]
	global_load_dwordx4 v[8:11], v21, s[10:11]
	global_load_dwordx4 v[12:15], v21, s[8:9] offset:2048
	global_load_dwordx4 v[22:25], v21, s[12:13]
	global_load_dwordx4 v[26:29], v21, s[10:11] offset:2048
	global_load_dwordx4 v[30:33], v21, s[12:13] offset:2048
	v_addc_co_u32_e32 v20, vcc, v3, v2, vcc
	global_load_dwordx4 v[34:37], v[17:18], off
	global_load_dwordx4 v[38:41], v[19:20], off
	s_movk_i32 s0, 0x80
	v_add_u32_e32 v3, 1, v0
	v_cmp_gt_u32_e64 s[0:1], s0, v0
	v_or_b32_e32 v1, 0x800, v21
	v_or_b32_e32 v2, 0x1000, v21
	;; [unrolled: 1-line block ×6, first 2 shown]
	s_waitcnt vmcnt(7)
	ds_write2_b64 v21, v[4:5], v[6:7] offset1:1
	s_waitcnt vmcnt(5)
	ds_write2_b64 v1, v[12:13], v[14:15] offset1:1
	ds_write2_b64 v2, v[8:9], v[10:11] offset1:1
	s_waitcnt vmcnt(3)
	ds_write2_b64 v16, v[26:27], v[28:29] offset1:1
	;; [unrolled: 3-line block ×3, first 2 shown]
	s_waitcnt vmcnt(1)
	ds_write2_b64 v44, v[34:35], v[36:37] offset1:1
	s_waitcnt vmcnt(0)
	ds_write2_b64 v45, v[38:39], v[40:41] offset1:1
	s_waitcnt lgkmcnt(0)
	s_barrier
	s_and_saveexec_b64 s[4:5], s[0:1]
	s_cbranch_execz .LBB82_2
; %bb.1:
	v_lshlrev_b32_e32 v16, 5, v3
	ds_read_b128 v[4:7], v16 offset:4064
	ds_read_b128 v[8:11], v16 offset:4080
	v_lshlrev_b32_e32 v1, 1, v3
	v_min_u32_e32 v1, 0xff, v1
	v_lshlrev_b32_e32 v52, 4, v1
	s_waitcnt lgkmcnt(1)
	v_mul_f64 v[1:2], v[6:7], v[6:7]
	ds_read_b128 v[12:15], v52 offset:4096
	ds_read_b128 v[22:25], v52
	v_add_u32_e32 v68, -16, v16
	s_waitcnt lgkmcnt(1)
	v_mul_f64 v[26:27], v[14:15], v[14:15]
	v_fma_f64 v[1:2], v[4:5], v[4:5], v[1:2]
	v_fma_f64 v[42:43], v[12:13], v[12:13], v[26:27]
	v_div_scale_f64 v[26:27], s[2:3], v[1:2], v[1:2], 1.0
	v_div_scale_f64 v[28:29], s[2:3], v[42:43], v[42:43], 1.0
	v_div_scale_f64 v[38:39], s[2:3], 1.0, v[42:43], 1.0
	v_rcp_f64_e32 v[30:31], v[26:27]
	v_rcp_f64_e32 v[32:33], v[28:29]
	v_fma_f64 v[34:35], -v[26:27], v[30:31], 1.0
	v_fma_f64 v[36:37], -v[28:29], v[32:33], 1.0
	v_fma_f64 v[30:31], v[30:31], v[34:35], v[30:31]
	v_div_scale_f64 v[34:35], vcc, 1.0, v[1:2], 1.0
	v_fma_f64 v[32:33], v[32:33], v[36:37], v[32:33]
	v_fma_f64 v[36:37], -v[26:27], v[30:31], 1.0
	v_fma_f64 v[40:41], -v[28:29], v[32:33], 1.0
	v_fma_f64 v[30:31], v[30:31], v[36:37], v[30:31]
	v_fma_f64 v[36:37], v[32:33], v[40:41], v[32:33]
	v_mul_f64 v[32:33], v[34:35], v[30:31]
	v_mul_f64 v[40:41], v[38:39], v[36:37]
	v_fma_f64 v[26:27], -v[26:27], v[32:33], v[34:35]
	v_fma_f64 v[34:35], -v[28:29], v[40:41], v[38:39]
	v_div_fmas_f64 v[44:45], v[26:27], v[30:31], v[32:33]
	ds_read_b128 v[26:29], v68
	v_subrev_u32_e32 v30, 32, v16
	s_mov_b64 vcc, s[2:3]
	ds_read_b128 v[30:33], v30
	v_div_fmas_f64 v[46:47], v[34:35], v[36:37], v[40:41]
	s_waitcnt lgkmcnt(1)
	v_mul_f64 v[48:49], v[6:7], -v[26:27]
	ds_read_b128 v[34:37], v16 offset:8176
	ds_read_b128 v[38:41], v16 offset:8160
	v_mul_f64 v[6:7], v[6:7], v[28:29]
	s_waitcnt lgkmcnt(1)
	v_mul_f64 v[50:51], v[14:15], -v[34:35]
	v_mul_f64 v[14:15], v[14:15], v[36:37]
	v_fma_f64 v[28:29], v[28:29], v[4:5], v[48:49]
	v_div_fixup_f64 v[1:2], v[44:45], v[1:2], 1.0
	v_fma_f64 v[44:45], v[26:27], v[4:5], v[6:7]
	v_fma_f64 v[48:49], v[36:37], v[12:13], v[50:51]
	v_div_fixup_f64 v[42:43], v[46:47], v[42:43], 1.0
	v_fma_f64 v[46:47], v[34:35], v[12:13], v[14:15]
	v_mul_f64 v[50:51], v[1:2], v[28:29]
	ds_read_b128 v[4:7], v16 offset:16352
	ds_read_b128 v[12:15], v16 offset:16368
	;; [unrolled: 1-line block ×4, first 2 shown]
	v_mul_f64 v[1:2], v[1:2], v[44:45]
	v_mul_f64 v[44:45], v[42:43], v[48:49]
	;; [unrolled: 1-line block ×3, first 2 shown]
	s_waitcnt lgkmcnt(4)
	v_mul_f64 v[46:47], v[50:51], -v[40:41]
	v_mul_f64 v[48:49], v[50:51], v[38:39]
	s_waitcnt lgkmcnt(3)
	v_mul_f64 v[52:53], v[50:51], -v[6:7]
	v_mul_f64 v[54:55], v[50:51], v[4:5]
	v_mul_f64 v[56:57], v[50:51], v[32:33]
	v_mul_f64 v[58:59], v[44:45], -v[24:25]
	v_mul_f64 v[60:61], v[44:45], v[22:23]
	s_waitcnt lgkmcnt(1)
	v_mul_f64 v[62:63], v[44:45], -v[28:29]
	v_fma_f64 v[38:39], v[38:39], v[1:2], v[46:47]
	v_fma_f64 v[40:41], v[40:41], v[1:2], v[48:49]
	v_mul_f64 v[64:65], v[44:45], v[26:27]
	v_fma_f64 v[4:5], v[4:5], v[1:2], v[52:53]
	v_fma_f64 v[6:7], v[6:7], v[1:2], v[54:55]
	v_mul_f64 v[50:51], v[50:51], -v[30:31]
	v_fma_f64 v[22:23], v[22:23], v[42:43], v[58:59]
	v_fma_f64 v[24:25], v[24:25], v[42:43], v[60:61]
	v_add_f64 v[38:39], v[8:9], -v[38:39]
	v_add_f64 v[10:11], v[10:11], -v[40:41]
	v_fma_f64 v[26:27], v[26:27], v[42:43], v[62:63]
	v_fma_f64 v[28:29], v[28:29], v[42:43], v[64:65]
	v_add_f64 v[40:41], v[12:13], -v[4:5]
	v_add_f64 v[46:47], v[14:15], -v[6:7]
	s_waitcnt lgkmcnt(0)
	v_mul_f64 v[66:67], v[44:45], v[36:37]
	v_mul_f64 v[44:45], v[44:45], -v[34:35]
	v_fma_f64 v[4:5], -v[30:31], v[1:2], v[56:57]
	v_fma_f64 v[6:7], -v[32:33], v[1:2], v[50:51]
	v_add_f64 v[12:13], v[38:39], -v[22:23]
	v_add_f64 v[14:15], v[10:11], -v[24:25]
	v_add_f64 v[22:23], v[40:41], -v[26:27]
	v_add_f64 v[24:25], v[46:47], -v[28:29]
	v_fma_f64 v[8:9], -v[34:35], v[42:43], v[66:67]
	v_fma_f64 v[10:11], -v[36:37], v[42:43], v[44:45]
	ds_write_b128 v68, v[4:7]
	ds_write_b128 v16, v[12:15] offset:4080
	ds_write_b128 v16, v[22:25] offset:16368
	;; [unrolled: 1-line block ×3, first 2 shown]
.LBB82_2:
	s_or_b64 exec, exec, s[4:5]
	v_cmp_gt_u32_e64 s[2:3], 64, v0
	v_lshlrev_b32_e32 v22, 6, v3
	s_waitcnt lgkmcnt(0)
	s_barrier
	s_and_saveexec_b64 s[6:7], s[2:3]
	s_cbranch_execz .LBB82_4
; %bb.3:
	ds_read_b128 v[4:7], v22 offset:4048
	ds_read_b128 v[8:11], v22 offset:4080
	v_lshl_or_b32 v1, v3, 2, 1
	v_min_u32_e32 v1, 0xff, v1
	v_lshlrev_b32_e32 v16, 4, v1
	s_waitcnt lgkmcnt(1)
	v_mul_f64 v[1:2], v[6:7], v[6:7]
	ds_read_b128 v[12:15], v16 offset:4096
	ds_read_b128 v[23:26], v16
	v_add_u32_e32 v69, -16, v22
	s_waitcnt lgkmcnt(1)
	v_mul_f64 v[27:28], v[14:15], v[14:15]
	v_fma_f64 v[1:2], v[4:5], v[4:5], v[1:2]
	v_fma_f64 v[43:44], v[12:13], v[12:13], v[27:28]
	v_div_scale_f64 v[27:28], s[4:5], v[1:2], v[1:2], 1.0
	v_div_scale_f64 v[29:30], s[4:5], v[43:44], v[43:44], 1.0
	v_div_scale_f64 v[39:40], s[4:5], 1.0, v[43:44], 1.0
	v_rcp_f64_e32 v[31:32], v[27:28]
	v_rcp_f64_e32 v[33:34], v[29:30]
	v_fma_f64 v[35:36], -v[27:28], v[31:32], 1.0
	v_fma_f64 v[37:38], -v[29:30], v[33:34], 1.0
	v_fma_f64 v[31:32], v[31:32], v[35:36], v[31:32]
	v_div_scale_f64 v[35:36], vcc, 1.0, v[1:2], 1.0
	v_fma_f64 v[33:34], v[33:34], v[37:38], v[33:34]
	v_fma_f64 v[37:38], -v[27:28], v[31:32], 1.0
	v_fma_f64 v[41:42], -v[29:30], v[33:34], 1.0
	v_fma_f64 v[31:32], v[31:32], v[37:38], v[31:32]
	v_fma_f64 v[37:38], v[33:34], v[41:42], v[33:34]
	v_mul_f64 v[33:34], v[35:36], v[31:32]
	v_mul_f64 v[41:42], v[39:40], v[37:38]
	v_fma_f64 v[27:28], -v[27:28], v[33:34], v[35:36]
	v_fma_f64 v[35:36], -v[29:30], v[41:42], v[39:40]
	v_div_fmas_f64 v[45:46], v[27:28], v[31:32], v[33:34]
	ds_read_b128 v[27:30], v69
	v_subrev_u32_e32 v31, 48, v22
	s_mov_b64 vcc, s[4:5]
	ds_read_b128 v[31:34], v31
	v_div_fmas_f64 v[47:48], v[35:36], v[37:38], v[41:42]
	s_waitcnt lgkmcnt(1)
	v_mul_f64 v[49:50], v[6:7], -v[27:28]
	ds_read_b128 v[35:38], v22 offset:8176
	ds_read_b128 v[39:42], v22 offset:8144
	v_mul_f64 v[6:7], v[6:7], v[29:30]
	s_waitcnt lgkmcnt(1)
	v_mul_f64 v[51:52], v[14:15], -v[35:36]
	v_mul_f64 v[14:15], v[14:15], v[37:38]
	v_fma_f64 v[29:30], v[29:30], v[4:5], v[49:50]
	v_div_fixup_f64 v[1:2], v[45:46], v[1:2], 1.0
	v_fma_f64 v[45:46], v[27:28], v[4:5], v[6:7]
	v_fma_f64 v[49:50], v[37:38], v[12:13], v[51:52]
	v_div_fixup_f64 v[43:44], v[47:48], v[43:44], 1.0
	v_fma_f64 v[47:48], v[35:36], v[12:13], v[14:15]
	v_mul_f64 v[51:52], v[1:2], v[29:30]
	ds_read_b128 v[4:7], v22 offset:16336
	ds_read_b128 v[12:15], v22 offset:16368
	;; [unrolled: 1-line block ×4, first 2 shown]
	v_mul_f64 v[1:2], v[1:2], v[45:46]
	v_mul_f64 v[45:46], v[43:44], v[49:50]
	;; [unrolled: 1-line block ×3, first 2 shown]
	s_waitcnt lgkmcnt(4)
	v_mul_f64 v[47:48], v[51:52], -v[41:42]
	v_mul_f64 v[49:50], v[51:52], v[39:40]
	s_waitcnt lgkmcnt(3)
	v_mul_f64 v[53:54], v[51:52], -v[6:7]
	v_mul_f64 v[55:56], v[51:52], v[4:5]
	v_mul_f64 v[57:58], v[51:52], v[33:34]
	v_mul_f64 v[59:60], v[45:46], -v[25:26]
	v_mul_f64 v[61:62], v[45:46], v[23:24]
	s_waitcnt lgkmcnt(1)
	v_mul_f64 v[63:64], v[45:46], -v[29:30]
	v_fma_f64 v[39:40], v[39:40], v[1:2], v[47:48]
	v_fma_f64 v[41:42], v[41:42], v[1:2], v[49:50]
	v_mul_f64 v[65:66], v[45:46], v[27:28]
	v_fma_f64 v[4:5], v[4:5], v[1:2], v[53:54]
	v_fma_f64 v[6:7], v[6:7], v[1:2], v[55:56]
	v_mul_f64 v[51:52], v[51:52], -v[31:32]
	v_fma_f64 v[23:24], v[23:24], v[43:44], v[59:60]
	v_fma_f64 v[25:26], v[25:26], v[43:44], v[61:62]
	v_add_f64 v[39:40], v[8:9], -v[39:40]
	v_add_f64 v[10:11], v[10:11], -v[41:42]
	v_fma_f64 v[27:28], v[27:28], v[43:44], v[63:64]
	v_fma_f64 v[29:30], v[29:30], v[43:44], v[65:66]
	v_add_f64 v[41:42], v[12:13], -v[4:5]
	v_add_f64 v[47:48], v[14:15], -v[6:7]
	s_waitcnt lgkmcnt(0)
	v_mul_f64 v[67:68], v[45:46], v[37:38]
	v_mul_f64 v[45:46], v[45:46], -v[35:36]
	v_fma_f64 v[4:5], -v[31:32], v[1:2], v[57:58]
	v_fma_f64 v[6:7], -v[33:34], v[1:2], v[51:52]
	v_add_f64 v[12:13], v[39:40], -v[23:24]
	v_add_f64 v[14:15], v[10:11], -v[25:26]
	;; [unrolled: 1-line block ×4, first 2 shown]
	v_fma_f64 v[8:9], -v[35:36], v[43:44], v[67:68]
	v_fma_f64 v[10:11], -v[37:38], v[43:44], v[45:46]
	ds_write_b128 v69, v[4:7]
	ds_write_b128 v22, v[12:15] offset:4080
	ds_write_b128 v22, v[23:26] offset:16368
	;; [unrolled: 1-line block ×3, first 2 shown]
.LBB82_4:
	s_or_b64 exec, exec, s[6:7]
	s_waitcnt lgkmcnt(0)
	s_barrier
	s_and_saveexec_b64 s[4:5], s[2:3]
	s_cbranch_execz .LBB82_6
; %bb.5:
	v_add_u32_e32 v1, -16, v22
	ds_read_b128 v[4:7], v1
	ds_read_b128 v[8:11], v22 offset:4080
	ds_read_b128 v[12:15], v22 offset:8176
	;; [unrolled: 1-line block ×3, first 2 shown]
	s_waitcnt lgkmcnt(3)
	ds_write_b128 v21, v[4:7] offset:20480
	s_waitcnt lgkmcnt(3)
	ds_write_b128 v21, v[8:11] offset:21504
	;; [unrolled: 2-line block ×4, first 2 shown]
.LBB82_6:
	s_or_b64 exec, exec, s[4:5]
	v_or_b32_e32 v25, 0x5000, v21
	v_or_b32_e32 v24, 0x5800, v21
	v_add_u32_e32 v26, 0x5400, v21
	v_or_b32_e32 v23, 0x6000, v21
	s_waitcnt lgkmcnt(0)
	s_barrier
                                        ; implicit-def: $vgpr13_vgpr14
                                        ; implicit-def: $vgpr5_vgpr6
                                        ; implicit-def: $vgpr9_vgpr10
                                        ; implicit-def: $vgpr1_vgpr2
	s_and_saveexec_b64 s[6:7], s[2:3]
	s_cbranch_execz .LBB82_8
; %bb.7:
	v_sub_u32_e64 v1, v0, 1 clamp
	v_lshlrev_b32_e32 v16, 4, v1
	ds_read_b128 v[4:7], v16 offset:21504
	ds_read_b128 v[8:11], v16 offset:20480
	v_min_u32_e32 v1, 63, v3
	v_lshlrev_b32_e32 v57, 4, v1
	ds_read_b128 v[12:15], v57 offset:21504
	ds_read_b128 v[27:30], v57 offset:20480
	s_waitcnt lgkmcnt(3)
	v_mul_f64 v[1:2], v[6:7], v[6:7]
	s_waitcnt lgkmcnt(1)
	v_mul_f64 v[31:32], v[14:15], v[14:15]
	v_fma_f64 v[1:2], v[4:5], v[4:5], v[1:2]
	v_fma_f64 v[47:48], v[12:13], v[12:13], v[31:32]
	v_div_scale_f64 v[31:32], s[4:5], v[1:2], v[1:2], 1.0
	v_div_scale_f64 v[33:34], s[4:5], v[47:48], v[47:48], 1.0
	v_div_scale_f64 v[43:44], s[4:5], 1.0, v[47:48], 1.0
	v_rcp_f64_e32 v[35:36], v[31:32]
	v_rcp_f64_e32 v[37:38], v[33:34]
	v_fma_f64 v[39:40], -v[31:32], v[35:36], 1.0
	v_fma_f64 v[41:42], -v[33:34], v[37:38], 1.0
	v_fma_f64 v[35:36], v[35:36], v[39:40], v[35:36]
	v_div_scale_f64 v[39:40], vcc, 1.0, v[1:2], 1.0
	v_fma_f64 v[37:38], v[37:38], v[41:42], v[37:38]
	v_fma_f64 v[41:42], -v[31:32], v[35:36], 1.0
	v_fma_f64 v[45:46], -v[33:34], v[37:38], 1.0
	v_fma_f64 v[35:36], v[35:36], v[41:42], v[35:36]
	v_fma_f64 v[41:42], v[37:38], v[45:46], v[37:38]
	v_mul_f64 v[37:38], v[39:40], v[35:36]
	v_mul_f64 v[45:46], v[43:44], v[41:42]
	v_fma_f64 v[31:32], -v[31:32], v[37:38], v[39:40]
	v_fma_f64 v[39:40], -v[33:34], v[45:46], v[43:44]
	v_div_fmas_f64 v[43:44], v[31:32], v[35:36], v[37:38]
	ds_read_b128 v[31:34], v25
	ds_read_b128 v[35:38], v24
	s_mov_b64 vcc, s[4:5]
	v_div_fmas_f64 v[49:50], v[39:40], v[41:42], v[45:46]
	s_waitcnt lgkmcnt(1)
	v_mul_f64 v[39:40], v[6:7], -v[31:32]
	v_mul_f64 v[6:7], v[6:7], v[33:34]
	s_waitcnt lgkmcnt(0)
	v_mul_f64 v[51:52], v[14:15], -v[35:36]
	v_mul_f64 v[14:15], v[14:15], v[37:38]
	v_fma_f64 v[33:34], v[33:34], v[4:5], v[39:40]
	v_fma_f64 v[5:6], v[31:32], v[4:5], v[6:7]
	;; [unrolled: 1-line block ×3, first 2 shown]
	v_div_fixup_f64 v[53:54], v[43:44], v[1:2], 1.0
	ds_read_b128 v[39:42], v26
	ds_read_b128 v[43:46], v23
	v_div_fixup_f64 v[47:48], v[49:50], v[47:48], 1.0
	v_fma_f64 v[49:50], v[35:36], v[12:13], v[14:15]
	v_mul_f64 v[55:56], v[53:54], v[33:34]
	ds_read_b128 v[1:4], v16 offset:22528
	ds_read_b128 v[12:15], v16 offset:24576
	;; [unrolled: 1-line block ×4, first 2 shown]
	v_mul_f64 v[5:6], v[53:54], v[5:6]
	v_mul_f64 v[51:52], v[47:48], v[51:52]
	;; [unrolled: 1-line block ×3, first 2 shown]
	s_waitcnt lgkmcnt(3)
	v_mul_f64 v[49:50], v[55:56], -v[3:4]
	v_mul_f64 v[53:54], v[55:56], v[1:2]
	s_waitcnt lgkmcnt(2)
	v_mul_f64 v[57:58], v[55:56], -v[14:15]
	v_mul_f64 v[59:60], v[55:56], v[12:13]
	v_mul_f64 v[63:64], v[51:52], -v[29:30]
	v_mul_f64 v[65:66], v[51:52], v[27:28]
	s_waitcnt lgkmcnt(1)
	v_mul_f64 v[67:68], v[51:52], -v[33:34]
	v_mul_f64 v[69:70], v[51:52], v[31:32]
	v_fma_f64 v[1:2], v[1:2], v[5:6], v[49:50]
	v_fma_f64 v[3:4], v[3:4], v[5:6], v[53:54]
	;; [unrolled: 1-line block ×4, first 2 shown]
	v_mul_f64 v[61:62], v[55:56], v[10:11]
	v_mul_f64 v[55:56], v[55:56], -v[8:9]
	s_waitcnt lgkmcnt(0)
	v_mul_f64 v[71:72], v[51:52], v[37:38]
	v_fma_f64 v[27:28], v[27:28], v[47:48], v[63:64]
	v_fma_f64 v[29:30], v[29:30], v[47:48], v[65:66]
	;; [unrolled: 1-line block ×4, first 2 shown]
	v_add_f64 v[39:40], v[39:40], -v[1:2]
	v_add_f64 v[41:42], v[41:42], -v[3:4]
	;; [unrolled: 1-line block ×4, first 2 shown]
	v_mul_f64 v[45:46], v[51:52], -v[35:36]
	v_fma_f64 v[1:2], -v[8:9], v[5:6], v[61:62]
	v_fma_f64 v[3:4], -v[10:11], v[5:6], v[55:56]
	;; [unrolled: 1-line block ×3, first 2 shown]
	v_add_f64 v[9:10], v[39:40], -v[27:28]
	v_add_f64 v[11:12], v[41:42], -v[29:30]
	;; [unrolled: 1-line block ×4, first 2 shown]
	v_fma_f64 v[7:8], -v[37:38], v[47:48], v[45:46]
.LBB82_8:
	s_or_b64 exec, exec, s[6:7]
	s_barrier
	s_and_saveexec_b64 s[4:5], s[2:3]
	s_cbranch_execz .LBB82_10
; %bb.9:
	ds_write_b128 v26, v[9:12]
	ds_write_b128 v23, v[13:16]
	;; [unrolled: 1-line block ×4, first 2 shown]
.LBB82_10:
	s_or_b64 exec, exec, s[4:5]
	s_waitcnt lgkmcnt(0)
	s_barrier
	s_and_saveexec_b64 s[6:7], s[2:3]
	s_cbranch_execz .LBB82_12
; %bb.11:
	v_sub_u32_e64 v1, v0, 2 clamp
	v_lshlrev_b32_e32 v55, 4, v1
	ds_read_b128 v[1:4], v55 offset:21504
	v_min_u32_e32 v5, 61, v0
	v_lshlrev_b32_e32 v56, 4, v5
	ds_read_b128 v[5:8], v55 offset:20480
	ds_read_b128 v[9:12], v56 offset:21536
	;; [unrolled: 1-line block ×3, first 2 shown]
	s_waitcnt lgkmcnt(3)
	v_mul_f64 v[27:28], v[3:4], v[3:4]
	s_waitcnt lgkmcnt(1)
	v_mul_f64 v[29:30], v[11:12], v[11:12]
	v_fma_f64 v[35:36], v[1:2], v[1:2], v[27:28]
	v_fma_f64 v[43:44], v[9:10], v[9:10], v[29:30]
	v_div_scale_f64 v[27:28], s[4:5], v[35:36], v[35:36], 1.0
	v_div_scale_f64 v[29:30], s[4:5], v[43:44], v[43:44], 1.0
	v_div_scale_f64 v[41:42], s[4:5], 1.0, v[43:44], 1.0
	v_rcp_f64_e32 v[31:32], v[27:28]
	v_rcp_f64_e32 v[33:34], v[29:30]
	v_fma_f64 v[37:38], -v[27:28], v[31:32], 1.0
	v_fma_f64 v[39:40], -v[29:30], v[33:34], 1.0
	v_fma_f64 v[31:32], v[31:32], v[37:38], v[31:32]
	v_div_scale_f64 v[37:38], vcc, 1.0, v[35:36], 1.0
	v_fma_f64 v[33:34], v[33:34], v[39:40], v[33:34]
	v_fma_f64 v[39:40], -v[27:28], v[31:32], 1.0
	v_fma_f64 v[45:46], -v[29:30], v[33:34], 1.0
	v_fma_f64 v[31:32], v[31:32], v[39:40], v[31:32]
	v_fma_f64 v[39:40], v[33:34], v[45:46], v[33:34]
	v_mul_f64 v[33:34], v[37:38], v[31:32]
	v_mul_f64 v[45:46], v[41:42], v[39:40]
	v_fma_f64 v[27:28], -v[27:28], v[33:34], v[37:38]
	v_fma_f64 v[37:38], -v[29:30], v[45:46], v[41:42]
	v_div_fmas_f64 v[41:42], v[27:28], v[31:32], v[33:34]
	ds_read_b128 v[27:30], v25
	ds_read_b128 v[31:34], v24
	s_mov_b64 vcc, s[4:5]
	v_div_fmas_f64 v[45:46], v[37:38], v[39:40], v[45:46]
	s_waitcnt lgkmcnt(1)
	v_mul_f64 v[37:38], v[3:4], -v[27:28]
	v_mul_f64 v[3:4], v[3:4], v[29:30]
	s_waitcnt lgkmcnt(0)
	v_mul_f64 v[47:48], v[11:12], -v[31:32]
	v_mul_f64 v[11:12], v[11:12], v[33:34]
	v_fma_f64 v[29:30], v[29:30], v[1:2], v[37:38]
	v_fma_f64 v[51:52], v[27:28], v[1:2], v[3:4]
	;; [unrolled: 1-line block ×3, first 2 shown]
	v_div_fixup_f64 v[49:50], v[41:42], v[35:36], 1.0
	ds_read_b128 v[35:38], v26
	ds_read_b128 v[39:42], v23
	v_div_fixup_f64 v[43:44], v[45:46], v[43:44], 1.0
	v_fma_f64 v[45:46], v[31:32], v[9:10], v[11:12]
	v_mul_f64 v[53:54], v[49:50], v[29:30]
	ds_read_b128 v[1:4], v55 offset:22528
	ds_read_b128 v[9:12], v55 offset:24576
	;; [unrolled: 1-line block ×4, first 2 shown]
	v_mul_f64 v[49:50], v[49:50], v[51:52]
	v_mul_f64 v[47:48], v[43:44], v[47:48]
	;; [unrolled: 1-line block ×3, first 2 shown]
	s_waitcnt lgkmcnt(3)
	v_mul_f64 v[45:46], v[53:54], -v[3:4]
	v_mul_f64 v[51:52], v[53:54], v[1:2]
	s_waitcnt lgkmcnt(2)
	v_mul_f64 v[55:56], v[53:54], -v[11:12]
	v_mul_f64 v[57:58], v[53:54], v[9:10]
	v_mul_f64 v[61:62], v[47:48], -v[15:16]
	v_mul_f64 v[63:64], v[47:48], v[13:14]
	s_waitcnt lgkmcnt(1)
	v_mul_f64 v[65:66], v[47:48], -v[29:30]
	v_mul_f64 v[67:68], v[47:48], v[27:28]
	v_fma_f64 v[1:2], v[1:2], v[49:50], v[45:46]
	v_fma_f64 v[3:4], v[3:4], v[49:50], v[51:52]
	;; [unrolled: 1-line block ×4, first 2 shown]
	v_mul_f64 v[59:60], v[53:54], v[7:8]
	v_mul_f64 v[53:54], v[53:54], -v[5:6]
	s_waitcnt lgkmcnt(0)
	v_mul_f64 v[69:70], v[47:48], v[33:34]
	v_fma_f64 v[13:14], v[13:14], v[43:44], v[61:62]
	v_fma_f64 v[15:16], v[15:16], v[43:44], v[63:64]
	;; [unrolled: 1-line block ×4, first 2 shown]
	v_add_f64 v[35:36], v[35:36], -v[1:2]
	v_add_f64 v[37:38], v[37:38], -v[3:4]
	v_add_f64 v[39:40], v[39:40], -v[9:10]
	v_add_f64 v[41:42], v[41:42], -v[11:12]
	v_mul_f64 v[45:46], v[47:48], -v[31:32]
	v_fma_f64 v[1:2], -v[5:6], v[49:50], v[59:60]
	v_fma_f64 v[3:4], -v[7:8], v[49:50], v[53:54]
	;; [unrolled: 1-line block ×3, first 2 shown]
	v_add_f64 v[9:10], v[35:36], -v[13:14]
	v_add_f64 v[11:12], v[37:38], -v[15:16]
	;; [unrolled: 1-line block ×4, first 2 shown]
	v_fma_f64 v[7:8], -v[33:34], v[43:44], v[45:46]
.LBB82_12:
	s_or_b64 exec, exec, s[6:7]
	s_barrier
	s_and_saveexec_b64 s[4:5], s[2:3]
	s_cbranch_execz .LBB82_14
; %bb.13:
	ds_write_b128 v26, v[9:12]
	ds_write_b128 v23, v[13:16]
	;; [unrolled: 1-line block ×4, first 2 shown]
.LBB82_14:
	s_or_b64 exec, exec, s[4:5]
	s_waitcnt lgkmcnt(0)
	s_barrier
	s_and_saveexec_b64 s[6:7], s[2:3]
	s_cbranch_execz .LBB82_16
; %bb.15:
	v_sub_u32_e64 v1, v0, 4 clamp
	v_lshlrev_b32_e32 v55, 4, v1
	ds_read_b128 v[1:4], v55 offset:21504
	v_min_u32_e32 v5, 59, v0
	v_lshlrev_b32_e32 v56, 4, v5
	ds_read_b128 v[5:8], v55 offset:20480
	ds_read_b128 v[9:12], v56 offset:21568
	;; [unrolled: 1-line block ×3, first 2 shown]
	s_waitcnt lgkmcnt(3)
	v_mul_f64 v[27:28], v[3:4], v[3:4]
	s_waitcnt lgkmcnt(1)
	v_mul_f64 v[29:30], v[11:12], v[11:12]
	v_fma_f64 v[35:36], v[1:2], v[1:2], v[27:28]
	v_fma_f64 v[43:44], v[9:10], v[9:10], v[29:30]
	v_div_scale_f64 v[27:28], s[4:5], v[35:36], v[35:36], 1.0
	v_div_scale_f64 v[29:30], s[4:5], v[43:44], v[43:44], 1.0
	v_div_scale_f64 v[41:42], s[4:5], 1.0, v[43:44], 1.0
	v_rcp_f64_e32 v[31:32], v[27:28]
	v_rcp_f64_e32 v[33:34], v[29:30]
	v_fma_f64 v[37:38], -v[27:28], v[31:32], 1.0
	v_fma_f64 v[39:40], -v[29:30], v[33:34], 1.0
	v_fma_f64 v[31:32], v[31:32], v[37:38], v[31:32]
	v_div_scale_f64 v[37:38], vcc, 1.0, v[35:36], 1.0
	v_fma_f64 v[33:34], v[33:34], v[39:40], v[33:34]
	v_fma_f64 v[39:40], -v[27:28], v[31:32], 1.0
	v_fma_f64 v[45:46], -v[29:30], v[33:34], 1.0
	v_fma_f64 v[31:32], v[31:32], v[39:40], v[31:32]
	v_fma_f64 v[39:40], v[33:34], v[45:46], v[33:34]
	v_mul_f64 v[33:34], v[37:38], v[31:32]
	v_mul_f64 v[45:46], v[41:42], v[39:40]
	v_fma_f64 v[27:28], -v[27:28], v[33:34], v[37:38]
	v_fma_f64 v[37:38], -v[29:30], v[45:46], v[41:42]
	v_div_fmas_f64 v[41:42], v[27:28], v[31:32], v[33:34]
	ds_read_b128 v[27:30], v25
	ds_read_b128 v[31:34], v24
	s_mov_b64 vcc, s[4:5]
	v_div_fmas_f64 v[45:46], v[37:38], v[39:40], v[45:46]
	s_waitcnt lgkmcnt(1)
	v_mul_f64 v[37:38], v[3:4], -v[27:28]
	v_mul_f64 v[3:4], v[3:4], v[29:30]
	s_waitcnt lgkmcnt(0)
	v_mul_f64 v[47:48], v[11:12], -v[31:32]
	v_mul_f64 v[11:12], v[11:12], v[33:34]
	v_fma_f64 v[29:30], v[29:30], v[1:2], v[37:38]
	v_fma_f64 v[51:52], v[27:28], v[1:2], v[3:4]
	;; [unrolled: 1-line block ×3, first 2 shown]
	v_div_fixup_f64 v[49:50], v[41:42], v[35:36], 1.0
	ds_read_b128 v[35:38], v26
	ds_read_b128 v[39:42], v23
	v_div_fixup_f64 v[43:44], v[45:46], v[43:44], 1.0
	v_fma_f64 v[45:46], v[31:32], v[9:10], v[11:12]
	v_mul_f64 v[53:54], v[49:50], v[29:30]
	ds_read_b128 v[1:4], v55 offset:22528
	ds_read_b128 v[9:12], v55 offset:24576
	;; [unrolled: 1-line block ×4, first 2 shown]
	v_mul_f64 v[49:50], v[49:50], v[51:52]
	v_mul_f64 v[47:48], v[43:44], v[47:48]
	;; [unrolled: 1-line block ×3, first 2 shown]
	s_waitcnt lgkmcnt(3)
	v_mul_f64 v[45:46], v[53:54], -v[3:4]
	v_mul_f64 v[51:52], v[53:54], v[1:2]
	s_waitcnt lgkmcnt(2)
	v_mul_f64 v[55:56], v[53:54], -v[11:12]
	v_mul_f64 v[57:58], v[53:54], v[9:10]
	v_mul_f64 v[61:62], v[47:48], -v[15:16]
	v_mul_f64 v[63:64], v[47:48], v[13:14]
	s_waitcnt lgkmcnt(1)
	v_mul_f64 v[65:66], v[47:48], -v[29:30]
	v_mul_f64 v[67:68], v[47:48], v[27:28]
	v_fma_f64 v[1:2], v[1:2], v[49:50], v[45:46]
	v_fma_f64 v[3:4], v[3:4], v[49:50], v[51:52]
	;; [unrolled: 1-line block ×4, first 2 shown]
	v_mul_f64 v[59:60], v[53:54], v[7:8]
	v_mul_f64 v[53:54], v[53:54], -v[5:6]
	s_waitcnt lgkmcnt(0)
	v_mul_f64 v[69:70], v[47:48], v[33:34]
	v_fma_f64 v[13:14], v[13:14], v[43:44], v[61:62]
	v_fma_f64 v[15:16], v[15:16], v[43:44], v[63:64]
	;; [unrolled: 1-line block ×4, first 2 shown]
	v_add_f64 v[35:36], v[35:36], -v[1:2]
	v_add_f64 v[37:38], v[37:38], -v[3:4]
	v_add_f64 v[39:40], v[39:40], -v[9:10]
	v_add_f64 v[41:42], v[41:42], -v[11:12]
	v_mul_f64 v[45:46], v[47:48], -v[31:32]
	v_fma_f64 v[1:2], -v[5:6], v[49:50], v[59:60]
	v_fma_f64 v[3:4], -v[7:8], v[49:50], v[53:54]
	;; [unrolled: 1-line block ×3, first 2 shown]
	v_add_f64 v[9:10], v[35:36], -v[13:14]
	v_add_f64 v[11:12], v[37:38], -v[15:16]
	;; [unrolled: 1-line block ×4, first 2 shown]
	v_fma_f64 v[7:8], -v[33:34], v[43:44], v[45:46]
.LBB82_16:
	s_or_b64 exec, exec, s[6:7]
	s_barrier
	s_and_saveexec_b64 s[4:5], s[2:3]
	s_cbranch_execz .LBB82_18
; %bb.17:
	ds_write_b128 v26, v[9:12]
	ds_write_b128 v23, v[13:16]
	;; [unrolled: 1-line block ×4, first 2 shown]
.LBB82_18:
	s_or_b64 exec, exec, s[4:5]
	s_waitcnt lgkmcnt(0)
	s_barrier
	s_and_saveexec_b64 s[6:7], s[2:3]
	s_cbranch_execz .LBB82_20
; %bb.19:
	v_sub_u32_e64 v1, v0, 8 clamp
	v_lshlrev_b32_e32 v55, 4, v1
	ds_read_b128 v[1:4], v55 offset:21504
	v_min_u32_e32 v5, 55, v0
	v_lshlrev_b32_e32 v56, 4, v5
	ds_read_b128 v[5:8], v55 offset:20480
	ds_read_b128 v[9:12], v56 offset:21632
	;; [unrolled: 1-line block ×3, first 2 shown]
	s_waitcnt lgkmcnt(3)
	v_mul_f64 v[27:28], v[3:4], v[3:4]
	s_waitcnt lgkmcnt(1)
	v_mul_f64 v[29:30], v[11:12], v[11:12]
	v_fma_f64 v[35:36], v[1:2], v[1:2], v[27:28]
	v_fma_f64 v[43:44], v[9:10], v[9:10], v[29:30]
	v_div_scale_f64 v[27:28], s[4:5], v[35:36], v[35:36], 1.0
	v_div_scale_f64 v[29:30], s[4:5], v[43:44], v[43:44], 1.0
	v_div_scale_f64 v[41:42], s[4:5], 1.0, v[43:44], 1.0
	v_rcp_f64_e32 v[31:32], v[27:28]
	v_rcp_f64_e32 v[33:34], v[29:30]
	v_fma_f64 v[37:38], -v[27:28], v[31:32], 1.0
	v_fma_f64 v[39:40], -v[29:30], v[33:34], 1.0
	v_fma_f64 v[31:32], v[31:32], v[37:38], v[31:32]
	v_div_scale_f64 v[37:38], vcc, 1.0, v[35:36], 1.0
	v_fma_f64 v[33:34], v[33:34], v[39:40], v[33:34]
	v_fma_f64 v[39:40], -v[27:28], v[31:32], 1.0
	v_fma_f64 v[45:46], -v[29:30], v[33:34], 1.0
	v_fma_f64 v[31:32], v[31:32], v[39:40], v[31:32]
	v_fma_f64 v[39:40], v[33:34], v[45:46], v[33:34]
	v_mul_f64 v[33:34], v[37:38], v[31:32]
	v_mul_f64 v[45:46], v[41:42], v[39:40]
	v_fma_f64 v[27:28], -v[27:28], v[33:34], v[37:38]
	v_fma_f64 v[37:38], -v[29:30], v[45:46], v[41:42]
	v_div_fmas_f64 v[41:42], v[27:28], v[31:32], v[33:34]
	ds_read_b128 v[27:30], v25
	ds_read_b128 v[31:34], v24
	s_mov_b64 vcc, s[4:5]
	v_div_fmas_f64 v[45:46], v[37:38], v[39:40], v[45:46]
	s_waitcnt lgkmcnt(1)
	v_mul_f64 v[37:38], v[3:4], -v[27:28]
	v_mul_f64 v[3:4], v[3:4], v[29:30]
	s_waitcnt lgkmcnt(0)
	v_mul_f64 v[47:48], v[11:12], -v[31:32]
	v_mul_f64 v[11:12], v[11:12], v[33:34]
	v_fma_f64 v[29:30], v[29:30], v[1:2], v[37:38]
	v_fma_f64 v[51:52], v[27:28], v[1:2], v[3:4]
	;; [unrolled: 1-line block ×3, first 2 shown]
	v_div_fixup_f64 v[49:50], v[41:42], v[35:36], 1.0
	ds_read_b128 v[35:38], v26
	ds_read_b128 v[39:42], v23
	v_div_fixup_f64 v[43:44], v[45:46], v[43:44], 1.0
	v_fma_f64 v[45:46], v[31:32], v[9:10], v[11:12]
	v_mul_f64 v[53:54], v[49:50], v[29:30]
	ds_read_b128 v[1:4], v55 offset:22528
	ds_read_b128 v[9:12], v55 offset:24576
	;; [unrolled: 1-line block ×4, first 2 shown]
	v_mul_f64 v[49:50], v[49:50], v[51:52]
	v_mul_f64 v[47:48], v[43:44], v[47:48]
	;; [unrolled: 1-line block ×3, first 2 shown]
	s_waitcnt lgkmcnt(3)
	v_mul_f64 v[45:46], v[53:54], -v[3:4]
	v_mul_f64 v[51:52], v[53:54], v[1:2]
	s_waitcnt lgkmcnt(2)
	v_mul_f64 v[55:56], v[53:54], -v[11:12]
	v_mul_f64 v[57:58], v[53:54], v[9:10]
	v_mul_f64 v[61:62], v[47:48], -v[15:16]
	v_mul_f64 v[63:64], v[47:48], v[13:14]
	s_waitcnt lgkmcnt(1)
	v_mul_f64 v[65:66], v[47:48], -v[29:30]
	v_mul_f64 v[67:68], v[47:48], v[27:28]
	v_fma_f64 v[1:2], v[1:2], v[49:50], v[45:46]
	v_fma_f64 v[3:4], v[3:4], v[49:50], v[51:52]
	;; [unrolled: 1-line block ×4, first 2 shown]
	v_mul_f64 v[59:60], v[53:54], v[7:8]
	v_mul_f64 v[53:54], v[53:54], -v[5:6]
	s_waitcnt lgkmcnt(0)
	v_mul_f64 v[69:70], v[47:48], v[33:34]
	v_fma_f64 v[13:14], v[13:14], v[43:44], v[61:62]
	v_fma_f64 v[15:16], v[15:16], v[43:44], v[63:64]
	;; [unrolled: 1-line block ×4, first 2 shown]
	v_add_f64 v[35:36], v[35:36], -v[1:2]
	v_add_f64 v[37:38], v[37:38], -v[3:4]
	;; [unrolled: 1-line block ×4, first 2 shown]
	v_mul_f64 v[45:46], v[47:48], -v[31:32]
	v_fma_f64 v[1:2], -v[5:6], v[49:50], v[59:60]
	v_fma_f64 v[3:4], -v[7:8], v[49:50], v[53:54]
	;; [unrolled: 1-line block ×3, first 2 shown]
	v_add_f64 v[9:10], v[35:36], -v[13:14]
	v_add_f64 v[11:12], v[37:38], -v[15:16]
	;; [unrolled: 1-line block ×4, first 2 shown]
	v_fma_f64 v[7:8], -v[33:34], v[43:44], v[45:46]
.LBB82_20:
	s_or_b64 exec, exec, s[6:7]
	s_barrier
	s_and_saveexec_b64 s[4:5], s[2:3]
	s_cbranch_execz .LBB82_22
; %bb.21:
	ds_write_b128 v26, v[9:12]
	ds_write_b128 v23, v[13:16]
	;; [unrolled: 1-line block ×4, first 2 shown]
.LBB82_22:
	s_or_b64 exec, exec, s[4:5]
	s_waitcnt lgkmcnt(0)
	s_barrier
	s_and_saveexec_b64 s[6:7], s[2:3]
	s_cbranch_execz .LBB82_24
; %bb.23:
	v_sub_u32_e64 v1, v0, 16 clamp
	v_lshlrev_b32_e32 v55, 4, v1
	ds_read_b128 v[1:4], v55 offset:21504
	v_min_u32_e32 v5, 47, v0
	v_lshlrev_b32_e32 v56, 4, v5
	ds_read_b128 v[5:8], v55 offset:20480
	ds_read_b128 v[9:12], v56 offset:21760
	;; [unrolled: 1-line block ×3, first 2 shown]
	s_waitcnt lgkmcnt(3)
	v_mul_f64 v[27:28], v[3:4], v[3:4]
	s_waitcnt lgkmcnt(1)
	v_mul_f64 v[29:30], v[11:12], v[11:12]
	v_fma_f64 v[35:36], v[1:2], v[1:2], v[27:28]
	v_fma_f64 v[43:44], v[9:10], v[9:10], v[29:30]
	v_div_scale_f64 v[27:28], s[4:5], v[35:36], v[35:36], 1.0
	v_div_scale_f64 v[29:30], s[4:5], v[43:44], v[43:44], 1.0
	v_div_scale_f64 v[41:42], s[4:5], 1.0, v[43:44], 1.0
	v_rcp_f64_e32 v[31:32], v[27:28]
	v_rcp_f64_e32 v[33:34], v[29:30]
	v_fma_f64 v[37:38], -v[27:28], v[31:32], 1.0
	v_fma_f64 v[39:40], -v[29:30], v[33:34], 1.0
	v_fma_f64 v[31:32], v[31:32], v[37:38], v[31:32]
	v_div_scale_f64 v[37:38], vcc, 1.0, v[35:36], 1.0
	v_fma_f64 v[33:34], v[33:34], v[39:40], v[33:34]
	v_fma_f64 v[39:40], -v[27:28], v[31:32], 1.0
	v_fma_f64 v[45:46], -v[29:30], v[33:34], 1.0
	v_fma_f64 v[31:32], v[31:32], v[39:40], v[31:32]
	v_fma_f64 v[39:40], v[33:34], v[45:46], v[33:34]
	v_mul_f64 v[33:34], v[37:38], v[31:32]
	v_mul_f64 v[45:46], v[41:42], v[39:40]
	v_fma_f64 v[27:28], -v[27:28], v[33:34], v[37:38]
	v_fma_f64 v[37:38], -v[29:30], v[45:46], v[41:42]
	v_div_fmas_f64 v[41:42], v[27:28], v[31:32], v[33:34]
	ds_read_b128 v[27:30], v25
	ds_read_b128 v[31:34], v24
	s_mov_b64 vcc, s[4:5]
	v_div_fmas_f64 v[45:46], v[37:38], v[39:40], v[45:46]
	s_waitcnt lgkmcnt(1)
	v_mul_f64 v[37:38], v[3:4], -v[27:28]
	v_mul_f64 v[3:4], v[3:4], v[29:30]
	s_waitcnt lgkmcnt(0)
	v_mul_f64 v[47:48], v[11:12], -v[31:32]
	v_mul_f64 v[11:12], v[11:12], v[33:34]
	v_fma_f64 v[29:30], v[29:30], v[1:2], v[37:38]
	v_fma_f64 v[51:52], v[27:28], v[1:2], v[3:4]
	;; [unrolled: 1-line block ×3, first 2 shown]
	v_div_fixup_f64 v[49:50], v[41:42], v[35:36], 1.0
	ds_read_b128 v[35:38], v26
	ds_read_b128 v[39:42], v23
	v_div_fixup_f64 v[43:44], v[45:46], v[43:44], 1.0
	v_fma_f64 v[45:46], v[31:32], v[9:10], v[11:12]
	v_mul_f64 v[53:54], v[49:50], v[29:30]
	ds_read_b128 v[1:4], v55 offset:22528
	ds_read_b128 v[9:12], v55 offset:24576
	ds_read_b128 v[27:30], v56 offset:24832
	ds_read_b128 v[31:34], v56 offset:22784
	v_mul_f64 v[49:50], v[49:50], v[51:52]
	v_mul_f64 v[47:48], v[43:44], v[47:48]
	;; [unrolled: 1-line block ×3, first 2 shown]
	s_waitcnt lgkmcnt(3)
	v_mul_f64 v[45:46], v[53:54], -v[3:4]
	v_mul_f64 v[51:52], v[53:54], v[1:2]
	s_waitcnt lgkmcnt(2)
	v_mul_f64 v[55:56], v[53:54], -v[11:12]
	v_mul_f64 v[57:58], v[53:54], v[9:10]
	v_mul_f64 v[61:62], v[47:48], -v[15:16]
	v_mul_f64 v[63:64], v[47:48], v[13:14]
	s_waitcnt lgkmcnt(1)
	v_mul_f64 v[65:66], v[47:48], -v[29:30]
	v_mul_f64 v[67:68], v[47:48], v[27:28]
	v_fma_f64 v[1:2], v[1:2], v[49:50], v[45:46]
	v_fma_f64 v[3:4], v[3:4], v[49:50], v[51:52]
	;; [unrolled: 1-line block ×4, first 2 shown]
	v_mul_f64 v[59:60], v[53:54], v[7:8]
	v_mul_f64 v[53:54], v[53:54], -v[5:6]
	s_waitcnt lgkmcnt(0)
	v_mul_f64 v[69:70], v[47:48], v[33:34]
	v_fma_f64 v[13:14], v[13:14], v[43:44], v[61:62]
	v_fma_f64 v[15:16], v[15:16], v[43:44], v[63:64]
	;; [unrolled: 1-line block ×4, first 2 shown]
	v_add_f64 v[35:36], v[35:36], -v[1:2]
	v_add_f64 v[37:38], v[37:38], -v[3:4]
	;; [unrolled: 1-line block ×4, first 2 shown]
	v_mul_f64 v[45:46], v[47:48], -v[31:32]
	v_fma_f64 v[1:2], -v[5:6], v[49:50], v[59:60]
	v_fma_f64 v[3:4], -v[7:8], v[49:50], v[53:54]
	;; [unrolled: 1-line block ×3, first 2 shown]
	v_add_f64 v[9:10], v[35:36], -v[13:14]
	v_add_f64 v[11:12], v[37:38], -v[15:16]
	;; [unrolled: 1-line block ×4, first 2 shown]
	v_fma_f64 v[7:8], -v[33:34], v[43:44], v[45:46]
.LBB82_24:
	s_or_b64 exec, exec, s[6:7]
	s_barrier
	s_and_saveexec_b64 s[4:5], s[2:3]
	s_cbranch_execz .LBB82_26
; %bb.25:
	ds_write_b128 v26, v[9:12]
	ds_write_b128 v23, v[13:16]
	;; [unrolled: 1-line block ×4, first 2 shown]
.LBB82_26:
	s_or_b64 exec, exec, s[4:5]
	v_cmp_gt_u32_e32 vcc, 32, v0
	s_waitcnt lgkmcnt(0)
	s_barrier
	s_and_saveexec_b64 s[4:5], vcc
	s_cbranch_execz .LBB82_28
; %bb.27:
	ds_read_b128 v[1:4], v26
	ds_read_b128 v[5:8], v26 offset:512
	ds_read_b128 v[9:12], v25 offset:512
	ds_read_b128 v[13:16], v24
	s_waitcnt lgkmcnt(2)
	v_mul_f64 v[24:25], v[3:4], v[5:6]
	v_mul_f64 v[28:29], v[3:4], -v[7:8]
	s_waitcnt lgkmcnt(0)
	v_mul_f64 v[26:27], v[11:12], v[13:14]
	v_mul_f64 v[30:31], v[11:12], -v[15:16]
	v_fma_f64 v[24:25], v[7:8], v[1:2], v[24:25]
	v_fma_f64 v[28:29], v[5:6], v[1:2], v[28:29]
	v_fma_f64 v[26:27], v[15:16], v[9:10], v[26:27]
	v_fma_f64 v[30:31], v[13:14], v[9:10], v[30:31]
	v_add_f64 v[32:33], v[24:25], -v[26:27]
	v_add_f64 v[34:35], v[28:29], -v[30:31]
	v_mul_f64 v[24:25], v[32:33], v[32:33]
	v_fma_f64 v[36:37], v[34:35], v[34:35], v[24:25]
	v_div_scale_f64 v[24:25], s[6:7], v[36:37], v[36:37], 1.0
	v_rcp_f64_e32 v[26:27], v[24:25]
	v_fma_f64 v[28:29], -v[24:25], v[26:27], 1.0
	v_fma_f64 v[26:27], v[26:27], v[28:29], v[26:27]
	v_div_scale_f64 v[28:29], vcc, 1.0, v[36:37], 1.0
	v_fma_f64 v[30:31], -v[24:25], v[26:27], 1.0
	v_fma_f64 v[38:39], v[26:27], v[30:31], v[26:27]
	v_mul_f64 v[40:41], v[28:29], v[38:39]
	v_fma_f64 v[42:43], -v[24:25], v[40:41], v[28:29]
	ds_read_b128 v[24:27], v23
	ds_read_b128 v[28:31], v23 offset:512
	s_waitcnt lgkmcnt(1)
	v_mul_f64 v[50:51], v[11:12], -v[26:27]
	s_waitcnt lgkmcnt(0)
	v_mul_f64 v[44:45], v[30:31], -v[15:16]
	v_mul_f64 v[46:47], v[13:14], v[30:31]
	v_div_fmas_f64 v[38:39], v[42:43], v[38:39], v[40:41]
	v_mul_f64 v[40:41], v[26:27], -v[7:8]
	v_mul_f64 v[42:43], v[5:6], v[26:27]
	v_mul_f64 v[48:49], v[3:4], -v[30:31]
	v_mul_f64 v[3:4], v[3:4], v[28:29]
	v_mul_f64 v[11:12], v[11:12], v[24:25]
	v_fma_f64 v[13:14], v[13:14], v[28:29], v[44:45]
	v_fma_f64 v[15:16], v[15:16], v[28:29], v[46:47]
	;; [unrolled: 1-line block ×4, first 2 shown]
	v_fma_f64 v[40:41], v[34:35], 0, -v[32:33]
	v_fma_f64 v[28:29], v[28:29], v[1:2], v[48:49]
	v_fma_f64 v[1:2], v[30:31], v[1:2], v[3:4]
	;; [unrolled: 1-line block ×4, first 2 shown]
	v_div_fixup_f64 v[36:37], v[38:39], v[36:37], 1.0
	v_fma_f64 v[11:12], v[32:33], 0, v[34:35]
	v_add_f64 v[7:8], v[7:8], -v[15:16]
	v_add_f64 v[5:6], v[5:6], -v[13:14]
	;; [unrolled: 1-line block ×4, first 2 shown]
	v_mul_f64 v[15:16], v[40:41], v[36:37]
	v_mul_f64 v[11:12], v[11:12], v[36:37]
	v_mul_f64 v[1:2], v[15:16], -v[7:8]
	v_mul_f64 v[3:4], v[15:16], v[5:6]
	v_mul_f64 v[23:24], v[15:16], -v[13:14]
	v_mul_f64 v[15:16], v[15:16], v[9:10]
	v_fma_f64 v[1:2], v[5:6], v[11:12], v[1:2]
	v_fma_f64 v[3:4], v[7:8], v[11:12], v[3:4]
	;; [unrolled: 1-line block ×4, first 2 shown]
	ds_write_b128 v21, v[1:4] offset:23552
	ds_write_b128 v21, v[5:8] offset:24064
.LBB82_28:
	s_or_b64 exec, exec, s[4:5]
	s_waitcnt lgkmcnt(0)
	s_barrier
	s_and_saveexec_b64 s[4:5], s[2:3]
	s_cbranch_execz .LBB82_30
; %bb.29:
	ds_read_b128 v[1:4], v21 offset:23552
	s_waitcnt lgkmcnt(0)
	ds_write_b128 v22, v[1:4] offset:12272
.LBB82_30:
	s_or_b64 exec, exec, s[4:5]
	s_waitcnt lgkmcnt(0)
	s_barrier
	s_and_saveexec_b64 s[4:5], s[2:3]
	s_cbranch_execz .LBB82_36
; %bb.31:
	v_lshlrev_b32_e32 v1, 2, v0
	v_mov_b32_e32 v2, 0x4000
	v_cmp_ne_u32_e32 vcc, 0, v0
	v_lshl_or_b32 v6, v0, 6, v2
	v_lshlrev_b32_e32 v5, 4, v1
                                        ; implicit-def: $vgpr3_vgpr4
	s_and_saveexec_b64 s[2:3], vcc
	s_xor_b64 s[2:3], exec, s[2:3]
	s_cbranch_execz .LBB82_33
; %bb.32:
	ds_read_b128 v[1:4], v5 offset:4112
	s_waitcnt lgkmcnt(0)
	v_mul_f64 v[7:8], v[3:4], v[3:4]
	v_fma_f64 v[30:31], v[1:2], v[1:2], v[7:8]
	v_div_scale_f64 v[32:33], s[6:7], v[30:31], v[30:31], 1.0
	v_div_scale_f64 v[34:35], vcc, 1.0, v[30:31], 1.0
	v_rcp_f64_e32 v[7:8], v[32:33]
	v_fma_f64 v[9:10], -v[32:33], v[7:8], 1.0
	v_fma_f64 v[15:16], v[7:8], v[9:10], v[7:8]
	ds_read_b128 v[7:10], v5 offset:16
	ds_read_b128 v[11:14], v5 offset:12272
	;; [unrolled: 1-line block ×4, first 2 shown]
	s_waitcnt lgkmcnt(2)
	v_mul_f64 v[38:39], v[13:14], v[7:8]
	v_mul_f64 v[40:41], v[13:14], -v[9:10]
	v_fma_f64 v[36:37], -v[32:33], v[15:16], 1.0
	v_fma_f64 v[9:10], v[9:10], v[11:12], v[38:39]
	v_fma_f64 v[36:37], v[15:16], v[36:37], v[15:16]
	ds_read_b128 v[13:16], v6 offset:16
	s_waitcnt lgkmcnt(1)
	v_mul_f64 v[42:43], v[28:29], v[22:23]
	v_mul_f64 v[28:29], v[28:29], -v[24:25]
	v_fma_f64 v[6:7], v[7:8], v[11:12], v[40:41]
	s_waitcnt lgkmcnt(0)
	v_add_f64 v[8:9], v[15:16], -v[9:10]
	v_mul_f64 v[38:39], v[34:35], v[36:37]
	v_fma_f64 v[11:12], v[24:25], v[26:27], v[42:43]
	v_fma_f64 v[15:16], v[22:23], v[26:27], v[28:29]
	v_add_f64 v[6:7], v[13:14], -v[6:7]
	v_fma_f64 v[22:23], -v[32:33], v[38:39], v[34:35]
	v_add_f64 v[8:9], v[8:9], -v[11:12]
	v_add_f64 v[6:7], v[6:7], -v[15:16]
	v_div_fmas_f64 v[10:11], v[22:23], v[36:37], v[38:39]
	v_mul_f64 v[12:13], v[3:4], v[8:9]
	v_mul_f64 v[3:4], v[3:4], -v[6:7]
	v_fma_f64 v[6:7], v[6:7], v[1:2], v[12:13]
	v_fma_f64 v[3:4], v[8:9], v[1:2], v[3:4]
	v_div_fixup_f64 v[10:11], v[10:11], v[30:31], 1.0
	v_mul_f64 v[1:2], v[6:7], v[10:11]
	v_mul_f64 v[3:4], v[10:11], v[3:4]
                                        ; implicit-def: $vgpr6
.LBB82_33:
	s_andn2_saveexec_b64 s[2:3], s[2:3]
	s_cbranch_execz .LBB82_35
; %bb.34:
	ds_read_b128 v[1:4], v5 offset:4112
	s_waitcnt lgkmcnt(0)
	v_mul_f64 v[7:8], v[3:4], v[3:4]
	v_fma_f64 v[15:16], v[1:2], v[1:2], v[7:8]
	v_div_scale_f64 v[26:27], s[6:7], v[15:16], v[15:16], 1.0
	v_div_scale_f64 v[28:29], vcc, 1.0, v[15:16], 1.0
	v_rcp_f64_e32 v[7:8], v[26:27]
	v_fma_f64 v[9:10], -v[26:27], v[7:8], 1.0
	v_fma_f64 v[11:12], v[7:8], v[9:10], v[7:8]
	ds_read_b128 v[7:10], v5 offset:8208
	v_fma_f64 v[13:14], -v[26:27], v[11:12], 1.0
	v_fma_f64 v[30:31], v[11:12], v[13:14], v[11:12]
	ds_read_b128 v[11:14], v5 offset:12336
	ds_read_b128 v[22:25], v6 offset:16
	s_waitcnt lgkmcnt(1)
	v_mul_f64 v[32:33], v[13:14], v[7:8]
	v_mul_f64 v[13:14], v[13:14], -v[9:10]
	v_mul_f64 v[34:35], v[28:29], v[30:31]
	v_fma_f64 v[9:10], v[9:10], v[11:12], v[32:33]
	v_fma_f64 v[6:7], v[7:8], v[11:12], v[13:14]
	v_fma_f64 v[26:27], -v[26:27], v[34:35], v[28:29]
	s_waitcnt lgkmcnt(0)
	v_add_f64 v[8:9], v[24:25], -v[9:10]
	v_add_f64 v[6:7], v[22:23], -v[6:7]
	v_div_fmas_f64 v[10:11], v[26:27], v[30:31], v[34:35]
	v_mul_f64 v[12:13], v[8:9], v[3:4]
	v_mul_f64 v[3:4], v[3:4], -v[6:7]
	v_fma_f64 v[6:7], v[6:7], v[1:2], v[12:13]
	v_fma_f64 v[3:4], v[8:9], v[1:2], v[3:4]
	v_div_fixup_f64 v[10:11], v[10:11], v[15:16], 1.0
	v_mul_f64 v[1:2], v[6:7], v[10:11]
	v_mul_f64 v[3:4], v[3:4], v[10:11]
.LBB82_35:
	s_or_b64 exec, exec, s[2:3]
	ds_write_b128 v5, v[1:4] offset:12304
.LBB82_36:
	s_or_b64 exec, exec, s[4:5]
	s_waitcnt lgkmcnt(0)
	s_barrier
	s_and_saveexec_b64 s[2:3], s[0:1]
	s_cbranch_execz .LBB82_42
; %bb.37:
	v_lshlrev_b32_e32 v1, 1, v0
	v_mov_b32_e32 v2, 0x4000
	v_cmp_ne_u32_e32 vcc, 0, v0
	v_lshl_or_b32 v5, v0, 5, v2
	v_lshlrev_b32_e32 v4, 4, v1
                                        ; implicit-def: $vgpr2_vgpr3
	s_and_saveexec_b64 s[0:1], vcc
	s_xor_b64 s[0:1], exec, s[0:1]
	s_cbranch_execz .LBB82_39
; %bb.38:
	ds_read_b128 v[0:3], v4 offset:4096
	s_waitcnt lgkmcnt(0)
	v_mul_f64 v[6:7], v[2:3], v[2:3]
	v_fma_f64 v[30:31], v[0:1], v[0:1], v[6:7]
	v_div_scale_f64 v[32:33], s[4:5], v[30:31], v[30:31], 1.0
	v_div_scale_f64 v[34:35], vcc, 1.0, v[30:31], 1.0
	v_rcp_f64_e32 v[6:7], v[32:33]
	v_fma_f64 v[8:9], -v[32:33], v[6:7], 1.0
	v_fma_f64 v[14:15], v[6:7], v[8:9], v[6:7]
	ds_read_b128 v[6:9], v4
	ds_read_b128 v[10:13], v4 offset:12272
	ds_read_b128 v[22:25], v4 offset:8192
	;; [unrolled: 1-line block ×3, first 2 shown]
	s_waitcnt lgkmcnt(2)
	v_mul_f64 v[38:39], v[12:13], v[6:7]
	v_mul_f64 v[40:41], v[12:13], -v[8:9]
	v_fma_f64 v[36:37], -v[32:33], v[14:15], 1.0
	v_fma_f64 v[8:9], v[8:9], v[10:11], v[38:39]
	v_fma_f64 v[36:37], v[14:15], v[36:37], v[14:15]
	ds_read_b128 v[12:15], v5
	s_waitcnt lgkmcnt(1)
	v_mul_f64 v[42:43], v[28:29], v[22:23]
	v_mul_f64 v[28:29], v[28:29], -v[24:25]
	v_fma_f64 v[5:6], v[6:7], v[10:11], v[40:41]
	s_waitcnt lgkmcnt(0)
	v_add_f64 v[7:8], v[14:15], -v[8:9]
	v_mul_f64 v[38:39], v[34:35], v[36:37]
	v_fma_f64 v[10:11], v[24:25], v[26:27], v[42:43]
	v_fma_f64 v[14:15], v[22:23], v[26:27], v[28:29]
	v_add_f64 v[5:6], v[12:13], -v[5:6]
	v_fma_f64 v[22:23], -v[32:33], v[38:39], v[34:35]
	v_add_f64 v[7:8], v[7:8], -v[10:11]
	v_add_f64 v[5:6], v[5:6], -v[14:15]
	v_div_fmas_f64 v[9:10], v[22:23], v[36:37], v[38:39]
	v_mul_f64 v[11:12], v[2:3], v[7:8]
	v_mul_f64 v[2:3], v[2:3], -v[5:6]
	v_fma_f64 v[5:6], v[5:6], v[0:1], v[11:12]
	v_fma_f64 v[2:3], v[7:8], v[0:1], v[2:3]
	v_div_fixup_f64 v[9:10], v[9:10], v[30:31], 1.0
	v_mul_f64 v[0:1], v[5:6], v[9:10]
	v_mul_f64 v[2:3], v[9:10], v[2:3]
                                        ; implicit-def: $vgpr5
.LBB82_39:
	s_andn2_saveexec_b64 s[0:1], s[0:1]
	s_cbranch_execz .LBB82_41
; %bb.40:
	ds_read_b128 v[0:3], v4 offset:4096
	s_waitcnt lgkmcnt(0)
	v_mul_f64 v[6:7], v[2:3], v[2:3]
	v_fma_f64 v[14:15], v[0:1], v[0:1], v[6:7]
	v_div_scale_f64 v[26:27], s[4:5], v[14:15], v[14:15], 1.0
	v_div_scale_f64 v[28:29], vcc, 1.0, v[14:15], 1.0
	v_rcp_f64_e32 v[6:7], v[26:27]
	v_fma_f64 v[8:9], -v[26:27], v[6:7], 1.0
	v_fma_f64 v[10:11], v[6:7], v[8:9], v[6:7]
	ds_read_b128 v[6:9], v4 offset:8192
	v_fma_f64 v[12:13], -v[26:27], v[10:11], 1.0
	v_fma_f64 v[30:31], v[10:11], v[12:13], v[10:11]
	ds_read_b128 v[10:13], v4 offset:12304
	ds_read_b128 v[22:25], v5
	s_waitcnt lgkmcnt(1)
	v_mul_f64 v[32:33], v[12:13], v[6:7]
	v_mul_f64 v[12:13], v[12:13], -v[8:9]
	v_mul_f64 v[34:35], v[28:29], v[30:31]
	v_fma_f64 v[8:9], v[8:9], v[10:11], v[32:33]
	v_fma_f64 v[5:6], v[6:7], v[10:11], v[12:13]
	v_fma_f64 v[26:27], -v[26:27], v[34:35], v[28:29]
	s_waitcnt lgkmcnt(0)
	v_add_f64 v[7:8], v[24:25], -v[8:9]
	v_add_f64 v[5:6], v[22:23], -v[5:6]
	v_div_fmas_f64 v[9:10], v[26:27], v[30:31], v[34:35]
	v_mul_f64 v[11:12], v[7:8], v[2:3]
	v_mul_f64 v[2:3], v[2:3], -v[5:6]
	v_fma_f64 v[5:6], v[5:6], v[0:1], v[11:12]
	v_fma_f64 v[2:3], v[7:8], v[0:1], v[2:3]
	v_div_fixup_f64 v[9:10], v[9:10], v[14:15], 1.0
	v_mul_f64 v[0:1], v[5:6], v[9:10]
	v_mul_f64 v[2:3], v[2:3], v[9:10]
.LBB82_41:
	s_or_b64 exec, exec, s[0:1]
	ds_write_b128 v4, v[0:3] offset:12288
.LBB82_42:
	s_or_b64 exec, exec, s[2:3]
	v_or_b32_e32 v0, 0x3000, v21
	v_or_b32_e32 v4, 0x3800, v21
	s_waitcnt lgkmcnt(0)
	s_barrier
	ds_read2_b64 v[0:3], v0 offset1:1
	ds_read2_b64 v[4:7], v4 offset1:1
	s_waitcnt lgkmcnt(1)
	global_store_dwordx4 v[17:18], v[0:3], off
	s_waitcnt lgkmcnt(0)
	global_store_dwordx4 v[19:20], v[4:7], off
	s_endpgm
	.section	.rodata,"a",@progbits
	.p2align	6, 0x0
	.amdhsa_kernel _ZN9rocsparseL37gtsv_nopivot_crpcr_pow2_shared_kernelILj128ELj64E21rocsparse_complex_numIdEEEviiiPKT1_S5_S5_PS3_
		.amdhsa_group_segment_fixed_size 25600
		.amdhsa_private_segment_fixed_size 0
		.amdhsa_kernarg_size 48
		.amdhsa_user_sgpr_count 6
		.amdhsa_user_sgpr_private_segment_buffer 1
		.amdhsa_user_sgpr_dispatch_ptr 0
		.amdhsa_user_sgpr_queue_ptr 0
		.amdhsa_user_sgpr_kernarg_segment_ptr 1
		.amdhsa_user_sgpr_dispatch_id 0
		.amdhsa_user_sgpr_flat_scratch_init 0
		.amdhsa_user_sgpr_private_segment_size 0
		.amdhsa_uses_dynamic_stack 0
		.amdhsa_system_sgpr_private_segment_wavefront_offset 0
		.amdhsa_system_sgpr_workgroup_id_x 1
		.amdhsa_system_sgpr_workgroup_id_y 0
		.amdhsa_system_sgpr_workgroup_id_z 0
		.amdhsa_system_sgpr_workgroup_info 0
		.amdhsa_system_vgpr_workitem_id 0
		.amdhsa_next_free_vgpr 129
		.amdhsa_next_free_sgpr 98
		.amdhsa_reserve_vcc 1
		.amdhsa_reserve_flat_scratch 0
		.amdhsa_float_round_mode_32 0
		.amdhsa_float_round_mode_16_64 0
		.amdhsa_float_denorm_mode_32 3
		.amdhsa_float_denorm_mode_16_64 3
		.amdhsa_dx10_clamp 1
		.amdhsa_ieee_mode 1
		.amdhsa_fp16_overflow 0
		.amdhsa_exception_fp_ieee_invalid_op 0
		.amdhsa_exception_fp_denorm_src 0
		.amdhsa_exception_fp_ieee_div_zero 0
		.amdhsa_exception_fp_ieee_overflow 0
		.amdhsa_exception_fp_ieee_underflow 0
		.amdhsa_exception_fp_ieee_inexact 0
		.amdhsa_exception_int_div_zero 0
	.end_amdhsa_kernel
	.section	.text._ZN9rocsparseL37gtsv_nopivot_crpcr_pow2_shared_kernelILj128ELj64E21rocsparse_complex_numIdEEEviiiPKT1_S5_S5_PS3_,"axG",@progbits,_ZN9rocsparseL37gtsv_nopivot_crpcr_pow2_shared_kernelILj128ELj64E21rocsparse_complex_numIdEEEviiiPKT1_S5_S5_PS3_,comdat
.Lfunc_end82:
	.size	_ZN9rocsparseL37gtsv_nopivot_crpcr_pow2_shared_kernelILj128ELj64E21rocsparse_complex_numIdEEEviiiPKT1_S5_S5_PS3_, .Lfunc_end82-_ZN9rocsparseL37gtsv_nopivot_crpcr_pow2_shared_kernelILj128ELj64E21rocsparse_complex_numIdEEEviiiPKT1_S5_S5_PS3_
                                        ; -- End function
	.set _ZN9rocsparseL37gtsv_nopivot_crpcr_pow2_shared_kernelILj128ELj64E21rocsparse_complex_numIdEEEviiiPKT1_S5_S5_PS3_.num_vgpr, 73
	.set _ZN9rocsparseL37gtsv_nopivot_crpcr_pow2_shared_kernelILj128ELj64E21rocsparse_complex_numIdEEEviiiPKT1_S5_S5_PS3_.num_agpr, 0
	.set _ZN9rocsparseL37gtsv_nopivot_crpcr_pow2_shared_kernelILj128ELj64E21rocsparse_complex_numIdEEEviiiPKT1_S5_S5_PS3_.numbered_sgpr, 16
	.set _ZN9rocsparseL37gtsv_nopivot_crpcr_pow2_shared_kernelILj128ELj64E21rocsparse_complex_numIdEEEviiiPKT1_S5_S5_PS3_.num_named_barrier, 0
	.set _ZN9rocsparseL37gtsv_nopivot_crpcr_pow2_shared_kernelILj128ELj64E21rocsparse_complex_numIdEEEviiiPKT1_S5_S5_PS3_.private_seg_size, 0
	.set _ZN9rocsparseL37gtsv_nopivot_crpcr_pow2_shared_kernelILj128ELj64E21rocsparse_complex_numIdEEEviiiPKT1_S5_S5_PS3_.uses_vcc, 1
	.set _ZN9rocsparseL37gtsv_nopivot_crpcr_pow2_shared_kernelILj128ELj64E21rocsparse_complex_numIdEEEviiiPKT1_S5_S5_PS3_.uses_flat_scratch, 0
	.set _ZN9rocsparseL37gtsv_nopivot_crpcr_pow2_shared_kernelILj128ELj64E21rocsparse_complex_numIdEEEviiiPKT1_S5_S5_PS3_.has_dyn_sized_stack, 0
	.set _ZN9rocsparseL37gtsv_nopivot_crpcr_pow2_shared_kernelILj128ELj64E21rocsparse_complex_numIdEEEviiiPKT1_S5_S5_PS3_.has_recursion, 0
	.set _ZN9rocsparseL37gtsv_nopivot_crpcr_pow2_shared_kernelILj128ELj64E21rocsparse_complex_numIdEEEviiiPKT1_S5_S5_PS3_.has_indirect_call, 0
	.section	.AMDGPU.csdata,"",@progbits
; Kernel info:
; codeLenInByte = 7744
; TotalNumSgprs: 20
; NumVgprs: 73
; ScratchSize: 0
; MemoryBound: 0
; FloatMode: 240
; IeeeMode: 1
; LDSByteSize: 25600 bytes/workgroup (compile time only)
; SGPRBlocks: 12
; VGPRBlocks: 32
; NumSGPRsForWavesPerEU: 102
; NumVGPRsForWavesPerEU: 129
; Occupancy: 1
; WaveLimiterHint : 0
; COMPUTE_PGM_RSRC2:SCRATCH_EN: 0
; COMPUTE_PGM_RSRC2:USER_SGPR: 6
; COMPUTE_PGM_RSRC2:TRAP_HANDLER: 0
; COMPUTE_PGM_RSRC2:TGID_X_EN: 1
; COMPUTE_PGM_RSRC2:TGID_Y_EN: 0
; COMPUTE_PGM_RSRC2:TGID_Z_EN: 0
; COMPUTE_PGM_RSRC2:TIDIG_COMP_CNT: 0
	.section	.text._ZN9rocsparseL37gtsv_nopivot_crpcr_pow2_shared_kernelILj256ELj64E21rocsparse_complex_numIdEEEviiiPKT1_S5_S5_PS3_,"axG",@progbits,_ZN9rocsparseL37gtsv_nopivot_crpcr_pow2_shared_kernelILj256ELj64E21rocsparse_complex_numIdEEEviiiPKT1_S5_S5_PS3_,comdat
	.globl	_ZN9rocsparseL37gtsv_nopivot_crpcr_pow2_shared_kernelILj256ELj64E21rocsparse_complex_numIdEEEviiiPKT1_S5_S5_PS3_ ; -- Begin function _ZN9rocsparseL37gtsv_nopivot_crpcr_pow2_shared_kernelILj256ELj64E21rocsparse_complex_numIdEEEviiiPKT1_S5_S5_PS3_
	.p2align	8
	.type	_ZN9rocsparseL37gtsv_nopivot_crpcr_pow2_shared_kernelILj256ELj64E21rocsparse_complex_numIdEEEviiiPKT1_S5_S5_PS3_,@function
_ZN9rocsparseL37gtsv_nopivot_crpcr_pow2_shared_kernelILj256ELj64E21rocsparse_complex_numIdEEEviiiPKT1_S5_S5_PS3_: ; @_ZN9rocsparseL37gtsv_nopivot_crpcr_pow2_shared_kernelILj256ELj64E21rocsparse_complex_numIdEEEviiiPKT1_S5_S5_PS3_
; %bb.0:
	s_load_dwordx8 s[8:15], s[4:5], 0x10
	s_load_dword s0, s[4:5], 0x8
	v_lshlrev_b32_e32 v21, 4, v0
	s_movk_i32 s1, 0x1000
	v_mov_b32_e32 v2, 0
	s_waitcnt lgkmcnt(0)
	v_mov_b32_e32 v1, s9
	v_add_co_u32_e32 v3, vcc, s8, v21
	v_addc_co_u32_e32 v1, vcc, 0, v1, vcc
	v_add_co_u32_e32 v3, vcc, s1, v3
	v_addc_co_u32_e32 v4, vcc, 0, v1, vcc
	global_load_dwordx4 v[4:7], v[3:4], off
	v_mov_b32_e32 v1, s11
	v_add_co_u32_e32 v3, vcc, s10, v21
	v_addc_co_u32_e32 v1, vcc, 0, v1, vcc
	v_add_co_u32_e32 v16, vcc, s1, v3
	v_addc_co_u32_e32 v17, vcc, 0, v1, vcc
	v_mov_b32_e32 v1, s13
	v_add_co_u32_e32 v3, vcc, s12, v21
	v_addc_co_u32_e32 v1, vcc, 0, v1, vcc
	global_load_dwordx4 v[8:11], v21, s[8:9]
	global_load_dwordx4 v[12:15], v21, s[10:11]
	global_load_dwordx4 v[22:25], v[16:17], off
	v_add_co_u32_e32 v16, vcc, s1, v3
	s_mul_i32 s0, s0, s6
	v_addc_co_u32_e32 v17, vcc, 0, v1, vcc
	v_add_u32_e32 v1, s0, v0
	global_load_dwordx4 v[30:33], v[16:17], off
	v_lshlrev_b64 v[17:18], 4, v[1:2]
	v_add_u32_e32 v1, 0x100, v1
	v_mov_b32_e32 v3, s15
	v_add_co_u32_e32 v17, vcc, s14, v17
	v_lshlrev_b64 v[1:2], 4, v[1:2]
	v_addc_co_u32_e32 v18, vcc, v3, v18, vcc
	v_add_co_u32_e32 v19, vcc, s14, v1
	global_load_dwordx4 v[26:29], v21, s[12:13]
	v_addc_co_u32_e32 v20, vcc, v3, v2, vcc
	global_load_dwordx4 v[34:37], v[17:18], off
	global_load_dwordx4 v[38:41], v[19:20], off
	s_movk_i32 s0, 0x100
	v_add_u32_e32 v3, 1, v0
	v_cmp_gt_u32_e64 s[0:1], s0, v0
	v_or_b32_e32 v1, 0x1000, v21
	v_or_b32_e32 v2, 0x2000, v21
	v_or_b32_e32 v16, 0x3000, v21
	v_or_b32_e32 v42, 0x4000, v21
	v_or_b32_e32 v43, 0x5000, v21
	v_or_b32_e32 v44, 0x8000, v21
	v_or_b32_e32 v45, 0x9000, v21
	s_waitcnt vmcnt(6)
	ds_write2_b64 v21, v[8:9], v[10:11] offset1:1
	s_waitcnt vmcnt(5)
	ds_write2_b64 v2, v[12:13], v[14:15] offset1:1
	;; [unrolled: 2-line block ×3, first 2 shown]
	ds_write2_b64 v1, v[4:5], v[6:7] offset1:1
	ds_write2_b64 v16, v[22:23], v[24:25] offset1:1
	;; [unrolled: 1-line block ×3, first 2 shown]
	s_waitcnt vmcnt(1)
	ds_write2_b64 v44, v[34:35], v[36:37] offset1:1
	s_waitcnt vmcnt(0)
	ds_write2_b64 v45, v[38:39], v[40:41] offset1:1
	s_waitcnt lgkmcnt(0)
	s_barrier
	s_and_saveexec_b64 s[4:5], s[0:1]
	s_cbranch_execz .LBB83_2
; %bb.1:
	v_lshlrev_b32_e32 v16, 5, v3
	ds_read_b128 v[4:7], v16 offset:8160
	ds_read_b128 v[8:11], v16 offset:8176
	v_lshlrev_b32_e32 v1, 1, v3
	v_min_u32_e32 v1, 0x1ff, v1
	v_lshlrev_b32_e32 v52, 4, v1
	s_waitcnt lgkmcnt(1)
	v_mul_f64 v[1:2], v[6:7], v[6:7]
	ds_read_b128 v[12:15], v52 offset:8192
	ds_read_b128 v[22:25], v52 offset:16384
	v_add_u32_e32 v68, -16, v16
	s_waitcnt lgkmcnt(1)
	v_mul_f64 v[26:27], v[14:15], v[14:15]
	v_fma_f64 v[1:2], v[4:5], v[4:5], v[1:2]
	v_fma_f64 v[42:43], v[12:13], v[12:13], v[26:27]
	v_div_scale_f64 v[26:27], s[2:3], v[1:2], v[1:2], 1.0
	v_div_scale_f64 v[28:29], s[2:3], v[42:43], v[42:43], 1.0
	v_div_scale_f64 v[38:39], s[2:3], 1.0, v[42:43], 1.0
	v_rcp_f64_e32 v[30:31], v[26:27]
	v_rcp_f64_e32 v[32:33], v[28:29]
	v_fma_f64 v[34:35], -v[26:27], v[30:31], 1.0
	v_fma_f64 v[36:37], -v[28:29], v[32:33], 1.0
	v_fma_f64 v[30:31], v[30:31], v[34:35], v[30:31]
	v_div_scale_f64 v[34:35], vcc, 1.0, v[1:2], 1.0
	v_fma_f64 v[32:33], v[32:33], v[36:37], v[32:33]
	v_fma_f64 v[36:37], -v[26:27], v[30:31], 1.0
	v_fma_f64 v[40:41], -v[28:29], v[32:33], 1.0
	v_fma_f64 v[30:31], v[30:31], v[36:37], v[30:31]
	v_fma_f64 v[36:37], v[32:33], v[40:41], v[32:33]
	v_mul_f64 v[32:33], v[34:35], v[30:31]
	v_mul_f64 v[40:41], v[38:39], v[36:37]
	v_fma_f64 v[26:27], -v[26:27], v[32:33], v[34:35]
	v_fma_f64 v[34:35], -v[28:29], v[40:41], v[38:39]
	v_div_fmas_f64 v[44:45], v[26:27], v[30:31], v[32:33]
	ds_read_b128 v[26:29], v68
	v_subrev_u32_e32 v30, 32, v16
	s_mov_b64 vcc, s[2:3]
	ds_read_b128 v[30:33], v30
	v_div_fmas_f64 v[46:47], v[34:35], v[36:37], v[40:41]
	s_waitcnt lgkmcnt(1)
	v_mul_f64 v[48:49], v[6:7], -v[26:27]
	ds_read_b128 v[34:37], v16 offset:16368
	ds_read_b128 v[38:41], v16 offset:16352
	v_mul_f64 v[6:7], v[6:7], v[28:29]
	s_waitcnt lgkmcnt(1)
	v_mul_f64 v[50:51], v[14:15], -v[34:35]
	v_mul_f64 v[14:15], v[14:15], v[36:37]
	v_fma_f64 v[28:29], v[28:29], v[4:5], v[48:49]
	v_div_fixup_f64 v[1:2], v[44:45], v[1:2], 1.0
	v_fma_f64 v[44:45], v[26:27], v[4:5], v[6:7]
	v_fma_f64 v[48:49], v[36:37], v[12:13], v[50:51]
	v_div_fixup_f64 v[42:43], v[46:47], v[42:43], 1.0
	v_fma_f64 v[46:47], v[34:35], v[12:13], v[14:15]
	v_mul_f64 v[50:51], v[1:2], v[28:29]
	ds_read_b128 v[4:7], v16 offset:32736
	ds_read_b128 v[12:15], v16 offset:32752
	ds_read_b128 v[26:29], v52
	ds_read_b128 v[34:37], v52 offset:32768
	v_mul_f64 v[1:2], v[1:2], v[44:45]
	v_mul_f64 v[44:45], v[42:43], v[48:49]
	;; [unrolled: 1-line block ×3, first 2 shown]
	s_waitcnt lgkmcnt(4)
	v_mul_f64 v[46:47], v[50:51], -v[40:41]
	v_mul_f64 v[48:49], v[50:51], v[38:39]
	s_waitcnt lgkmcnt(3)
	v_mul_f64 v[52:53], v[50:51], -v[6:7]
	v_mul_f64 v[54:55], v[50:51], v[4:5]
	v_mul_f64 v[56:57], v[50:51], v[32:33]
	s_waitcnt lgkmcnt(1)
	v_mul_f64 v[58:59], v[44:45], -v[28:29]
	v_mul_f64 v[60:61], v[44:45], v[26:27]
	s_waitcnt lgkmcnt(0)
	v_mul_f64 v[62:63], v[44:45], -v[36:37]
	v_fma_f64 v[38:39], v[38:39], v[1:2], v[46:47]
	v_fma_f64 v[40:41], v[40:41], v[1:2], v[48:49]
	v_mul_f64 v[64:65], v[44:45], v[34:35]
	v_fma_f64 v[4:5], v[4:5], v[1:2], v[52:53]
	v_fma_f64 v[6:7], v[6:7], v[1:2], v[54:55]
	v_mul_f64 v[50:51], v[50:51], -v[30:31]
	v_fma_f64 v[26:27], v[26:27], v[42:43], v[58:59]
	v_fma_f64 v[28:29], v[28:29], v[42:43], v[60:61]
	v_add_f64 v[38:39], v[8:9], -v[38:39]
	v_add_f64 v[10:11], v[10:11], -v[40:41]
	v_fma_f64 v[34:35], v[34:35], v[42:43], v[62:63]
	v_fma_f64 v[36:37], v[36:37], v[42:43], v[64:65]
	v_add_f64 v[40:41], v[12:13], -v[4:5]
	v_add_f64 v[46:47], v[14:15], -v[6:7]
	v_mul_f64 v[66:67], v[44:45], v[24:25]
	v_mul_f64 v[44:45], v[44:45], -v[22:23]
	v_fma_f64 v[4:5], -v[30:31], v[1:2], v[56:57]
	v_fma_f64 v[6:7], -v[32:33], v[1:2], v[50:51]
	v_add_f64 v[12:13], v[38:39], -v[26:27]
	v_add_f64 v[14:15], v[10:11], -v[28:29]
	;; [unrolled: 1-line block ×4, first 2 shown]
	v_fma_f64 v[8:9], -v[22:23], v[42:43], v[66:67]
	v_fma_f64 v[10:11], -v[24:25], v[42:43], v[44:45]
	ds_write_b128 v68, v[4:7]
	ds_write_b128 v16, v[12:15] offset:8176
	ds_write_b128 v16, v[26:29] offset:32752
	;; [unrolled: 1-line block ×3, first 2 shown]
.LBB83_2:
	s_or_b64 exec, exec, s[4:5]
	s_movk_i32 s2, 0x80
	v_cmp_gt_u32_e64 s[2:3], s2, v0
	s_waitcnt lgkmcnt(0)
	s_barrier
	s_and_saveexec_b64 s[6:7], s[2:3]
	s_cbranch_execz .LBB83_4
; %bb.3:
	v_lshlrev_b32_e32 v16, 6, v3
	ds_read_b128 v[4:7], v16 offset:8144
	ds_read_b128 v[8:11], v16 offset:8176
	v_lshl_or_b32 v1, v3, 2, 1
	v_min_u32_e32 v1, 0x1ff, v1
	v_lshlrev_b32_e32 v52, 4, v1
	s_waitcnt lgkmcnt(1)
	v_mul_f64 v[1:2], v[6:7], v[6:7]
	ds_read_b128 v[12:15], v52 offset:8192
	ds_read_b128 v[22:25], v52 offset:16384
	v_add_u32_e32 v68, -16, v16
	s_waitcnt lgkmcnt(1)
	v_mul_f64 v[26:27], v[14:15], v[14:15]
	v_fma_f64 v[1:2], v[4:5], v[4:5], v[1:2]
	v_fma_f64 v[42:43], v[12:13], v[12:13], v[26:27]
	v_div_scale_f64 v[26:27], s[4:5], v[1:2], v[1:2], 1.0
	v_div_scale_f64 v[28:29], s[4:5], v[42:43], v[42:43], 1.0
	v_div_scale_f64 v[38:39], s[4:5], 1.0, v[42:43], 1.0
	v_rcp_f64_e32 v[30:31], v[26:27]
	v_rcp_f64_e32 v[32:33], v[28:29]
	v_fma_f64 v[34:35], -v[26:27], v[30:31], 1.0
	v_fma_f64 v[36:37], -v[28:29], v[32:33], 1.0
	v_fma_f64 v[30:31], v[30:31], v[34:35], v[30:31]
	v_div_scale_f64 v[34:35], vcc, 1.0, v[1:2], 1.0
	v_fma_f64 v[32:33], v[32:33], v[36:37], v[32:33]
	v_fma_f64 v[36:37], -v[26:27], v[30:31], 1.0
	v_fma_f64 v[40:41], -v[28:29], v[32:33], 1.0
	v_fma_f64 v[30:31], v[30:31], v[36:37], v[30:31]
	v_fma_f64 v[36:37], v[32:33], v[40:41], v[32:33]
	v_mul_f64 v[32:33], v[34:35], v[30:31]
	v_mul_f64 v[40:41], v[38:39], v[36:37]
	v_fma_f64 v[26:27], -v[26:27], v[32:33], v[34:35]
	v_fma_f64 v[34:35], -v[28:29], v[40:41], v[38:39]
	v_div_fmas_f64 v[44:45], v[26:27], v[30:31], v[32:33]
	ds_read_b128 v[26:29], v68
	v_subrev_u32_e32 v30, 48, v16
	s_mov_b64 vcc, s[4:5]
	ds_read_b128 v[30:33], v30
	v_div_fmas_f64 v[46:47], v[34:35], v[36:37], v[40:41]
	s_waitcnt lgkmcnt(1)
	v_mul_f64 v[48:49], v[6:7], -v[26:27]
	ds_read_b128 v[34:37], v16 offset:16368
	ds_read_b128 v[38:41], v16 offset:16336
	v_mul_f64 v[6:7], v[6:7], v[28:29]
	s_waitcnt lgkmcnt(1)
	v_mul_f64 v[50:51], v[14:15], -v[34:35]
	v_mul_f64 v[14:15], v[14:15], v[36:37]
	v_fma_f64 v[28:29], v[28:29], v[4:5], v[48:49]
	v_div_fixup_f64 v[1:2], v[44:45], v[1:2], 1.0
	v_fma_f64 v[44:45], v[26:27], v[4:5], v[6:7]
	v_fma_f64 v[48:49], v[36:37], v[12:13], v[50:51]
	v_div_fixup_f64 v[42:43], v[46:47], v[42:43], 1.0
	v_fma_f64 v[46:47], v[34:35], v[12:13], v[14:15]
	v_mul_f64 v[50:51], v[1:2], v[28:29]
	ds_read_b128 v[4:7], v16 offset:32720
	ds_read_b128 v[12:15], v16 offset:32752
	ds_read_b128 v[26:29], v52
	ds_read_b128 v[34:37], v52 offset:32768
	v_mul_f64 v[1:2], v[1:2], v[44:45]
	v_mul_f64 v[44:45], v[42:43], v[48:49]
	;; [unrolled: 1-line block ×3, first 2 shown]
	s_waitcnt lgkmcnt(4)
	v_mul_f64 v[46:47], v[50:51], -v[40:41]
	v_mul_f64 v[48:49], v[50:51], v[38:39]
	s_waitcnt lgkmcnt(3)
	v_mul_f64 v[52:53], v[50:51], -v[6:7]
	v_mul_f64 v[54:55], v[50:51], v[4:5]
	v_mul_f64 v[56:57], v[50:51], v[32:33]
	s_waitcnt lgkmcnt(1)
	v_mul_f64 v[58:59], v[44:45], -v[28:29]
	v_mul_f64 v[60:61], v[44:45], v[26:27]
	s_waitcnt lgkmcnt(0)
	v_mul_f64 v[62:63], v[44:45], -v[36:37]
	v_fma_f64 v[38:39], v[38:39], v[1:2], v[46:47]
	v_fma_f64 v[40:41], v[40:41], v[1:2], v[48:49]
	v_mul_f64 v[64:65], v[44:45], v[34:35]
	v_fma_f64 v[4:5], v[4:5], v[1:2], v[52:53]
	v_fma_f64 v[6:7], v[6:7], v[1:2], v[54:55]
	v_mul_f64 v[50:51], v[50:51], -v[30:31]
	v_fma_f64 v[26:27], v[26:27], v[42:43], v[58:59]
	v_fma_f64 v[28:29], v[28:29], v[42:43], v[60:61]
	v_add_f64 v[38:39], v[8:9], -v[38:39]
	v_add_f64 v[10:11], v[10:11], -v[40:41]
	v_fma_f64 v[34:35], v[34:35], v[42:43], v[62:63]
	v_fma_f64 v[36:37], v[36:37], v[42:43], v[64:65]
	v_add_f64 v[40:41], v[12:13], -v[4:5]
	v_add_f64 v[46:47], v[14:15], -v[6:7]
	v_mul_f64 v[66:67], v[44:45], v[24:25]
	v_mul_f64 v[44:45], v[44:45], -v[22:23]
	v_fma_f64 v[4:5], -v[30:31], v[1:2], v[56:57]
	v_fma_f64 v[6:7], -v[32:33], v[1:2], v[50:51]
	v_add_f64 v[12:13], v[38:39], -v[26:27]
	v_add_f64 v[14:15], v[10:11], -v[28:29]
	;; [unrolled: 1-line block ×4, first 2 shown]
	v_fma_f64 v[8:9], -v[22:23], v[42:43], v[66:67]
	v_fma_f64 v[10:11], -v[24:25], v[42:43], v[44:45]
	ds_write_b128 v68, v[4:7]
	ds_write_b128 v16, v[12:15] offset:8176
	ds_write_b128 v16, v[26:29] offset:32752
	;; [unrolled: 1-line block ×3, first 2 shown]
.LBB83_4:
	s_or_b64 exec, exec, s[6:7]
	v_cmp_gt_u32_e64 s[4:5], 64, v0
	v_lshlrev_b32_e32 v22, 7, v3
	s_waitcnt lgkmcnt(0)
	s_barrier
	s_and_saveexec_b64 s[8:9], s[4:5]
	s_cbranch_execz .LBB83_6
; %bb.5:
	ds_read_b128 v[4:7], v22 offset:8112
	ds_read_b128 v[8:11], v22 offset:8176
	v_lshl_or_b32 v1, v3, 3, 3
	v_min_u32_e32 v1, 0x1ff, v1
	v_lshlrev_b32_e32 v16, 4, v1
	s_waitcnt lgkmcnt(1)
	v_mul_f64 v[1:2], v[6:7], v[6:7]
	ds_read_b128 v[12:15], v16 offset:8192
	ds_read_b128 v[23:26], v16 offset:16384
	v_add_u32_e32 v69, -16, v22
	s_waitcnt lgkmcnt(1)
	v_mul_f64 v[27:28], v[14:15], v[14:15]
	v_fma_f64 v[1:2], v[4:5], v[4:5], v[1:2]
	v_fma_f64 v[43:44], v[12:13], v[12:13], v[27:28]
	v_div_scale_f64 v[27:28], s[6:7], v[1:2], v[1:2], 1.0
	v_div_scale_f64 v[29:30], s[6:7], v[43:44], v[43:44], 1.0
	v_div_scale_f64 v[39:40], s[6:7], 1.0, v[43:44], 1.0
	v_rcp_f64_e32 v[31:32], v[27:28]
	v_rcp_f64_e32 v[33:34], v[29:30]
	v_fma_f64 v[35:36], -v[27:28], v[31:32], 1.0
	v_fma_f64 v[37:38], -v[29:30], v[33:34], 1.0
	v_fma_f64 v[31:32], v[31:32], v[35:36], v[31:32]
	v_div_scale_f64 v[35:36], vcc, 1.0, v[1:2], 1.0
	v_fma_f64 v[33:34], v[33:34], v[37:38], v[33:34]
	v_fma_f64 v[37:38], -v[27:28], v[31:32], 1.0
	v_fma_f64 v[41:42], -v[29:30], v[33:34], 1.0
	v_fma_f64 v[31:32], v[31:32], v[37:38], v[31:32]
	v_fma_f64 v[37:38], v[33:34], v[41:42], v[33:34]
	v_mul_f64 v[33:34], v[35:36], v[31:32]
	v_mul_f64 v[41:42], v[39:40], v[37:38]
	v_fma_f64 v[27:28], -v[27:28], v[33:34], v[35:36]
	v_fma_f64 v[35:36], -v[29:30], v[41:42], v[39:40]
	v_div_fmas_f64 v[45:46], v[27:28], v[31:32], v[33:34]
	ds_read_b128 v[27:30], v69
	v_add_u32_e32 v31, 0xffffffb0, v22
	s_mov_b64 vcc, s[6:7]
	ds_read_b128 v[31:34], v31
	v_div_fmas_f64 v[47:48], v[35:36], v[37:38], v[41:42]
	s_waitcnt lgkmcnt(1)
	v_mul_f64 v[49:50], v[6:7], -v[27:28]
	ds_read_b128 v[35:38], v22 offset:16368
	ds_read_b128 v[39:42], v22 offset:16304
	v_mul_f64 v[6:7], v[6:7], v[29:30]
	s_waitcnt lgkmcnt(1)
	v_mul_f64 v[51:52], v[14:15], -v[35:36]
	v_mul_f64 v[14:15], v[14:15], v[37:38]
	v_fma_f64 v[29:30], v[29:30], v[4:5], v[49:50]
	v_div_fixup_f64 v[1:2], v[45:46], v[1:2], 1.0
	v_fma_f64 v[45:46], v[27:28], v[4:5], v[6:7]
	v_fma_f64 v[49:50], v[37:38], v[12:13], v[51:52]
	v_div_fixup_f64 v[43:44], v[47:48], v[43:44], 1.0
	v_fma_f64 v[47:48], v[35:36], v[12:13], v[14:15]
	v_mul_f64 v[51:52], v[1:2], v[29:30]
	ds_read_b128 v[4:7], v22 offset:32688
	ds_read_b128 v[12:15], v22 offset:32752
	ds_read_b128 v[27:30], v16
	ds_read_b128 v[35:38], v16 offset:32768
	v_mul_f64 v[1:2], v[1:2], v[45:46]
	v_mul_f64 v[45:46], v[43:44], v[49:50]
	;; [unrolled: 1-line block ×3, first 2 shown]
	s_waitcnt lgkmcnt(4)
	v_mul_f64 v[47:48], v[51:52], -v[41:42]
	v_mul_f64 v[49:50], v[51:52], v[39:40]
	s_waitcnt lgkmcnt(3)
	v_mul_f64 v[53:54], v[51:52], -v[6:7]
	v_mul_f64 v[55:56], v[51:52], v[4:5]
	v_mul_f64 v[57:58], v[51:52], v[33:34]
	s_waitcnt lgkmcnt(1)
	v_mul_f64 v[59:60], v[45:46], -v[29:30]
	v_mul_f64 v[61:62], v[45:46], v[27:28]
	s_waitcnt lgkmcnt(0)
	v_mul_f64 v[63:64], v[45:46], -v[37:38]
	v_fma_f64 v[39:40], v[39:40], v[1:2], v[47:48]
	v_fma_f64 v[41:42], v[41:42], v[1:2], v[49:50]
	v_mul_f64 v[65:66], v[45:46], v[35:36]
	v_fma_f64 v[4:5], v[4:5], v[1:2], v[53:54]
	v_fma_f64 v[6:7], v[6:7], v[1:2], v[55:56]
	v_mul_f64 v[51:52], v[51:52], -v[31:32]
	v_fma_f64 v[27:28], v[27:28], v[43:44], v[59:60]
	v_fma_f64 v[29:30], v[29:30], v[43:44], v[61:62]
	v_add_f64 v[39:40], v[8:9], -v[39:40]
	v_add_f64 v[10:11], v[10:11], -v[41:42]
	v_fma_f64 v[35:36], v[35:36], v[43:44], v[63:64]
	v_fma_f64 v[37:38], v[37:38], v[43:44], v[65:66]
	v_add_f64 v[41:42], v[12:13], -v[4:5]
	v_add_f64 v[47:48], v[14:15], -v[6:7]
	v_mul_f64 v[67:68], v[45:46], v[25:26]
	v_mul_f64 v[45:46], v[45:46], -v[23:24]
	v_fma_f64 v[4:5], -v[31:32], v[1:2], v[57:58]
	v_fma_f64 v[6:7], -v[33:34], v[1:2], v[51:52]
	v_add_f64 v[12:13], v[39:40], -v[27:28]
	v_add_f64 v[14:15], v[10:11], -v[29:30]
	;; [unrolled: 1-line block ×4, first 2 shown]
	v_fma_f64 v[8:9], -v[23:24], v[43:44], v[67:68]
	v_fma_f64 v[10:11], -v[25:26], v[43:44], v[45:46]
	ds_write_b128 v69, v[4:7]
	ds_write_b128 v22, v[12:15] offset:8176
	ds_write_b128 v22, v[27:30] offset:32752
	;; [unrolled: 1-line block ×3, first 2 shown]
.LBB83_6:
	s_or_b64 exec, exec, s[8:9]
	s_waitcnt lgkmcnt(0)
	s_barrier
	s_and_saveexec_b64 s[6:7], s[4:5]
	s_cbranch_execz .LBB83_8
; %bb.7:
	v_add_u32_e32 v1, -16, v22
	ds_read_b128 v[4:7], v1
	ds_read_b128 v[8:11], v22 offset:8176
	ds_read_b128 v[12:15], v22 offset:16368
	ds_read_b128 v[23:26], v22 offset:32752
	s_waitcnt lgkmcnt(3)
	ds_write_b128 v21, v[4:7] offset:40960
	s_waitcnt lgkmcnt(3)
	ds_write_b128 v21, v[8:11] offset:41984
	s_waitcnt lgkmcnt(3)
	ds_write_b128 v21, v[12:15] offset:43008
	s_waitcnt lgkmcnt(3)
	ds_write_b128 v21, v[23:26] offset:45056
.LBB83_8:
	s_or_b64 exec, exec, s[6:7]
	v_or_b32_e32 v25, 0xa000, v21
	v_add_u32_e32 v24, 0xa800, v21
	v_add_u32_e32 v26, 0xa400, v21
	v_or_b32_e32 v23, 0xb000, v21
	s_waitcnt lgkmcnt(0)
	s_barrier
                                        ; implicit-def: $vgpr13_vgpr14
                                        ; implicit-def: $vgpr5_vgpr6
                                        ; implicit-def: $vgpr9_vgpr10
                                        ; implicit-def: $vgpr1_vgpr2
	s_and_saveexec_b64 s[8:9], s[4:5]
	s_cbranch_execz .LBB83_10
; %bb.9:
	v_sub_u32_e64 v1, v0, 1 clamp
	v_lshlrev_b32_e32 v16, 4, v1
	ds_read_b128 v[4:7], v16 offset:41984
	ds_read_b128 v[8:11], v16 offset:40960
	v_min_u32_e32 v1, 63, v3
	v_lshlrev_b32_e32 v57, 4, v1
	ds_read_b128 v[12:15], v57 offset:41984
	ds_read_b128 v[27:30], v57 offset:40960
	s_waitcnt lgkmcnt(3)
	v_mul_f64 v[1:2], v[6:7], v[6:7]
	s_waitcnt lgkmcnt(1)
	v_mul_f64 v[31:32], v[14:15], v[14:15]
	v_fma_f64 v[1:2], v[4:5], v[4:5], v[1:2]
	v_fma_f64 v[47:48], v[12:13], v[12:13], v[31:32]
	v_div_scale_f64 v[31:32], s[6:7], v[1:2], v[1:2], 1.0
	v_div_scale_f64 v[33:34], s[6:7], v[47:48], v[47:48], 1.0
	v_div_scale_f64 v[43:44], s[6:7], 1.0, v[47:48], 1.0
	v_rcp_f64_e32 v[35:36], v[31:32]
	v_rcp_f64_e32 v[37:38], v[33:34]
	v_fma_f64 v[39:40], -v[31:32], v[35:36], 1.0
	v_fma_f64 v[41:42], -v[33:34], v[37:38], 1.0
	v_fma_f64 v[35:36], v[35:36], v[39:40], v[35:36]
	v_div_scale_f64 v[39:40], vcc, 1.0, v[1:2], 1.0
	v_fma_f64 v[37:38], v[37:38], v[41:42], v[37:38]
	v_fma_f64 v[41:42], -v[31:32], v[35:36], 1.0
	v_fma_f64 v[45:46], -v[33:34], v[37:38], 1.0
	v_fma_f64 v[35:36], v[35:36], v[41:42], v[35:36]
	v_fma_f64 v[41:42], v[37:38], v[45:46], v[37:38]
	v_mul_f64 v[37:38], v[39:40], v[35:36]
	v_mul_f64 v[45:46], v[43:44], v[41:42]
	v_fma_f64 v[31:32], -v[31:32], v[37:38], v[39:40]
	v_fma_f64 v[39:40], -v[33:34], v[45:46], v[43:44]
	v_div_fmas_f64 v[43:44], v[31:32], v[35:36], v[37:38]
	ds_read_b128 v[31:34], v25
	ds_read_b128 v[35:38], v24
	s_mov_b64 vcc, s[6:7]
	v_div_fmas_f64 v[49:50], v[39:40], v[41:42], v[45:46]
	s_waitcnt lgkmcnt(1)
	v_mul_f64 v[39:40], v[6:7], -v[31:32]
	v_mul_f64 v[6:7], v[6:7], v[33:34]
	s_waitcnt lgkmcnt(0)
	v_mul_f64 v[51:52], v[14:15], -v[35:36]
	v_mul_f64 v[14:15], v[14:15], v[37:38]
	v_fma_f64 v[33:34], v[33:34], v[4:5], v[39:40]
	v_fma_f64 v[5:6], v[31:32], v[4:5], v[6:7]
	;; [unrolled: 1-line block ×3, first 2 shown]
	v_div_fixup_f64 v[53:54], v[43:44], v[1:2], 1.0
	ds_read_b128 v[39:42], v26
	ds_read_b128 v[43:46], v23
	v_div_fixup_f64 v[47:48], v[49:50], v[47:48], 1.0
	v_fma_f64 v[49:50], v[35:36], v[12:13], v[14:15]
	v_mul_f64 v[55:56], v[53:54], v[33:34]
	ds_read_b128 v[1:4], v16 offset:43008
	ds_read_b128 v[12:15], v16 offset:45056
	;; [unrolled: 1-line block ×4, first 2 shown]
	v_mul_f64 v[5:6], v[53:54], v[5:6]
	v_mul_f64 v[51:52], v[47:48], v[51:52]
	;; [unrolled: 1-line block ×3, first 2 shown]
	s_waitcnt lgkmcnt(3)
	v_mul_f64 v[49:50], v[55:56], -v[3:4]
	v_mul_f64 v[53:54], v[55:56], v[1:2]
	s_waitcnt lgkmcnt(2)
	v_mul_f64 v[57:58], v[55:56], -v[14:15]
	v_mul_f64 v[59:60], v[55:56], v[12:13]
	v_mul_f64 v[63:64], v[51:52], -v[29:30]
	v_mul_f64 v[65:66], v[51:52], v[27:28]
	s_waitcnt lgkmcnt(1)
	v_mul_f64 v[67:68], v[51:52], -v[33:34]
	v_mul_f64 v[69:70], v[51:52], v[31:32]
	v_fma_f64 v[1:2], v[1:2], v[5:6], v[49:50]
	v_fma_f64 v[3:4], v[3:4], v[5:6], v[53:54]
	;; [unrolled: 1-line block ×4, first 2 shown]
	v_mul_f64 v[61:62], v[55:56], v[10:11]
	v_mul_f64 v[55:56], v[55:56], -v[8:9]
	s_waitcnt lgkmcnt(0)
	v_mul_f64 v[71:72], v[51:52], v[37:38]
	v_fma_f64 v[27:28], v[27:28], v[47:48], v[63:64]
	v_fma_f64 v[29:30], v[29:30], v[47:48], v[65:66]
	;; [unrolled: 1-line block ×4, first 2 shown]
	v_add_f64 v[39:40], v[39:40], -v[1:2]
	v_add_f64 v[41:42], v[41:42], -v[3:4]
	;; [unrolled: 1-line block ×4, first 2 shown]
	v_mul_f64 v[45:46], v[51:52], -v[35:36]
	v_fma_f64 v[1:2], -v[8:9], v[5:6], v[61:62]
	v_fma_f64 v[3:4], -v[10:11], v[5:6], v[55:56]
	v_fma_f64 v[5:6], -v[35:36], v[47:48], v[71:72]
	v_add_f64 v[9:10], v[39:40], -v[27:28]
	v_add_f64 v[11:12], v[41:42], -v[29:30]
	;; [unrolled: 1-line block ×4, first 2 shown]
	v_fma_f64 v[7:8], -v[37:38], v[47:48], v[45:46]
.LBB83_10:
	s_or_b64 exec, exec, s[8:9]
	s_barrier
	s_and_saveexec_b64 s[6:7], s[4:5]
	s_cbranch_execz .LBB83_12
; %bb.11:
	ds_write_b128 v26, v[9:12]
	ds_write_b128 v23, v[13:16]
	;; [unrolled: 1-line block ×4, first 2 shown]
.LBB83_12:
	s_or_b64 exec, exec, s[6:7]
	s_waitcnt lgkmcnt(0)
	s_barrier
	s_and_saveexec_b64 s[8:9], s[4:5]
	s_cbranch_execz .LBB83_14
; %bb.13:
	v_sub_u32_e64 v1, v0, 2 clamp
	v_lshlrev_b32_e32 v55, 4, v1
	ds_read_b128 v[1:4], v55 offset:41984
	v_min_u32_e32 v5, 61, v0
	v_lshlrev_b32_e32 v56, 4, v5
	ds_read_b128 v[5:8], v55 offset:40960
	ds_read_b128 v[9:12], v56 offset:42016
	;; [unrolled: 1-line block ×3, first 2 shown]
	s_waitcnt lgkmcnt(3)
	v_mul_f64 v[27:28], v[3:4], v[3:4]
	s_waitcnt lgkmcnt(1)
	v_mul_f64 v[29:30], v[11:12], v[11:12]
	v_fma_f64 v[35:36], v[1:2], v[1:2], v[27:28]
	v_fma_f64 v[43:44], v[9:10], v[9:10], v[29:30]
	v_div_scale_f64 v[27:28], s[6:7], v[35:36], v[35:36], 1.0
	v_div_scale_f64 v[29:30], s[6:7], v[43:44], v[43:44], 1.0
	v_div_scale_f64 v[41:42], s[6:7], 1.0, v[43:44], 1.0
	v_rcp_f64_e32 v[31:32], v[27:28]
	v_rcp_f64_e32 v[33:34], v[29:30]
	v_fma_f64 v[37:38], -v[27:28], v[31:32], 1.0
	v_fma_f64 v[39:40], -v[29:30], v[33:34], 1.0
	v_fma_f64 v[31:32], v[31:32], v[37:38], v[31:32]
	v_div_scale_f64 v[37:38], vcc, 1.0, v[35:36], 1.0
	v_fma_f64 v[33:34], v[33:34], v[39:40], v[33:34]
	v_fma_f64 v[39:40], -v[27:28], v[31:32], 1.0
	v_fma_f64 v[45:46], -v[29:30], v[33:34], 1.0
	v_fma_f64 v[31:32], v[31:32], v[39:40], v[31:32]
	v_fma_f64 v[39:40], v[33:34], v[45:46], v[33:34]
	v_mul_f64 v[33:34], v[37:38], v[31:32]
	v_mul_f64 v[45:46], v[41:42], v[39:40]
	v_fma_f64 v[27:28], -v[27:28], v[33:34], v[37:38]
	v_fma_f64 v[37:38], -v[29:30], v[45:46], v[41:42]
	v_div_fmas_f64 v[41:42], v[27:28], v[31:32], v[33:34]
	ds_read_b128 v[27:30], v25
	ds_read_b128 v[31:34], v24
	s_mov_b64 vcc, s[6:7]
	v_div_fmas_f64 v[45:46], v[37:38], v[39:40], v[45:46]
	s_waitcnt lgkmcnt(1)
	v_mul_f64 v[37:38], v[3:4], -v[27:28]
	v_mul_f64 v[3:4], v[3:4], v[29:30]
	s_waitcnt lgkmcnt(0)
	v_mul_f64 v[47:48], v[11:12], -v[31:32]
	v_mul_f64 v[11:12], v[11:12], v[33:34]
	v_fma_f64 v[29:30], v[29:30], v[1:2], v[37:38]
	v_fma_f64 v[51:52], v[27:28], v[1:2], v[3:4]
	;; [unrolled: 1-line block ×3, first 2 shown]
	v_div_fixup_f64 v[49:50], v[41:42], v[35:36], 1.0
	ds_read_b128 v[35:38], v26
	ds_read_b128 v[39:42], v23
	v_div_fixup_f64 v[43:44], v[45:46], v[43:44], 1.0
	v_fma_f64 v[45:46], v[31:32], v[9:10], v[11:12]
	v_mul_f64 v[53:54], v[49:50], v[29:30]
	ds_read_b128 v[1:4], v55 offset:43008
	ds_read_b128 v[9:12], v55 offset:45056
	;; [unrolled: 1-line block ×4, first 2 shown]
	v_mul_f64 v[49:50], v[49:50], v[51:52]
	v_mul_f64 v[47:48], v[43:44], v[47:48]
	;; [unrolled: 1-line block ×3, first 2 shown]
	s_waitcnt lgkmcnt(3)
	v_mul_f64 v[45:46], v[53:54], -v[3:4]
	v_mul_f64 v[51:52], v[53:54], v[1:2]
	s_waitcnt lgkmcnt(2)
	v_mul_f64 v[55:56], v[53:54], -v[11:12]
	v_mul_f64 v[57:58], v[53:54], v[9:10]
	v_mul_f64 v[61:62], v[47:48], -v[15:16]
	v_mul_f64 v[63:64], v[47:48], v[13:14]
	s_waitcnt lgkmcnt(1)
	v_mul_f64 v[65:66], v[47:48], -v[29:30]
	v_mul_f64 v[67:68], v[47:48], v[27:28]
	v_fma_f64 v[1:2], v[1:2], v[49:50], v[45:46]
	v_fma_f64 v[3:4], v[3:4], v[49:50], v[51:52]
	;; [unrolled: 1-line block ×4, first 2 shown]
	v_mul_f64 v[59:60], v[53:54], v[7:8]
	v_mul_f64 v[53:54], v[53:54], -v[5:6]
	s_waitcnt lgkmcnt(0)
	v_mul_f64 v[69:70], v[47:48], v[33:34]
	v_fma_f64 v[13:14], v[13:14], v[43:44], v[61:62]
	v_fma_f64 v[15:16], v[15:16], v[43:44], v[63:64]
	;; [unrolled: 1-line block ×4, first 2 shown]
	v_add_f64 v[35:36], v[35:36], -v[1:2]
	v_add_f64 v[37:38], v[37:38], -v[3:4]
	v_add_f64 v[39:40], v[39:40], -v[9:10]
	v_add_f64 v[41:42], v[41:42], -v[11:12]
	v_mul_f64 v[45:46], v[47:48], -v[31:32]
	v_fma_f64 v[1:2], -v[5:6], v[49:50], v[59:60]
	v_fma_f64 v[3:4], -v[7:8], v[49:50], v[53:54]
	;; [unrolled: 1-line block ×3, first 2 shown]
	v_add_f64 v[9:10], v[35:36], -v[13:14]
	v_add_f64 v[11:12], v[37:38], -v[15:16]
	;; [unrolled: 1-line block ×4, first 2 shown]
	v_fma_f64 v[7:8], -v[33:34], v[43:44], v[45:46]
.LBB83_14:
	s_or_b64 exec, exec, s[8:9]
	s_barrier
	s_and_saveexec_b64 s[6:7], s[4:5]
	s_cbranch_execz .LBB83_16
; %bb.15:
	ds_write_b128 v26, v[9:12]
	ds_write_b128 v23, v[13:16]
	;; [unrolled: 1-line block ×4, first 2 shown]
.LBB83_16:
	s_or_b64 exec, exec, s[6:7]
	s_waitcnt lgkmcnt(0)
	s_barrier
	s_and_saveexec_b64 s[8:9], s[4:5]
	s_cbranch_execz .LBB83_18
; %bb.17:
	v_sub_u32_e64 v1, v0, 4 clamp
	v_lshlrev_b32_e32 v55, 4, v1
	ds_read_b128 v[1:4], v55 offset:41984
	v_min_u32_e32 v5, 59, v0
	v_lshlrev_b32_e32 v56, 4, v5
	ds_read_b128 v[5:8], v55 offset:40960
	ds_read_b128 v[9:12], v56 offset:42048
	;; [unrolled: 1-line block ×3, first 2 shown]
	s_waitcnt lgkmcnt(3)
	v_mul_f64 v[27:28], v[3:4], v[3:4]
	s_waitcnt lgkmcnt(1)
	v_mul_f64 v[29:30], v[11:12], v[11:12]
	v_fma_f64 v[35:36], v[1:2], v[1:2], v[27:28]
	v_fma_f64 v[43:44], v[9:10], v[9:10], v[29:30]
	v_div_scale_f64 v[27:28], s[6:7], v[35:36], v[35:36], 1.0
	v_div_scale_f64 v[29:30], s[6:7], v[43:44], v[43:44], 1.0
	v_div_scale_f64 v[41:42], s[6:7], 1.0, v[43:44], 1.0
	v_rcp_f64_e32 v[31:32], v[27:28]
	v_rcp_f64_e32 v[33:34], v[29:30]
	v_fma_f64 v[37:38], -v[27:28], v[31:32], 1.0
	v_fma_f64 v[39:40], -v[29:30], v[33:34], 1.0
	v_fma_f64 v[31:32], v[31:32], v[37:38], v[31:32]
	v_div_scale_f64 v[37:38], vcc, 1.0, v[35:36], 1.0
	v_fma_f64 v[33:34], v[33:34], v[39:40], v[33:34]
	v_fma_f64 v[39:40], -v[27:28], v[31:32], 1.0
	v_fma_f64 v[45:46], -v[29:30], v[33:34], 1.0
	v_fma_f64 v[31:32], v[31:32], v[39:40], v[31:32]
	v_fma_f64 v[39:40], v[33:34], v[45:46], v[33:34]
	v_mul_f64 v[33:34], v[37:38], v[31:32]
	v_mul_f64 v[45:46], v[41:42], v[39:40]
	v_fma_f64 v[27:28], -v[27:28], v[33:34], v[37:38]
	v_fma_f64 v[37:38], -v[29:30], v[45:46], v[41:42]
	v_div_fmas_f64 v[41:42], v[27:28], v[31:32], v[33:34]
	ds_read_b128 v[27:30], v25
	ds_read_b128 v[31:34], v24
	s_mov_b64 vcc, s[6:7]
	v_div_fmas_f64 v[45:46], v[37:38], v[39:40], v[45:46]
	s_waitcnt lgkmcnt(1)
	v_mul_f64 v[37:38], v[3:4], -v[27:28]
	v_mul_f64 v[3:4], v[3:4], v[29:30]
	s_waitcnt lgkmcnt(0)
	v_mul_f64 v[47:48], v[11:12], -v[31:32]
	v_mul_f64 v[11:12], v[11:12], v[33:34]
	v_fma_f64 v[29:30], v[29:30], v[1:2], v[37:38]
	v_fma_f64 v[51:52], v[27:28], v[1:2], v[3:4]
	;; [unrolled: 1-line block ×3, first 2 shown]
	v_div_fixup_f64 v[49:50], v[41:42], v[35:36], 1.0
	ds_read_b128 v[35:38], v26
	ds_read_b128 v[39:42], v23
	v_div_fixup_f64 v[43:44], v[45:46], v[43:44], 1.0
	v_fma_f64 v[45:46], v[31:32], v[9:10], v[11:12]
	v_mul_f64 v[53:54], v[49:50], v[29:30]
	ds_read_b128 v[1:4], v55 offset:43008
	ds_read_b128 v[9:12], v55 offset:45056
	ds_read_b128 v[27:30], v56 offset:45120
	ds_read_b128 v[31:34], v56 offset:43072
	v_mul_f64 v[49:50], v[49:50], v[51:52]
	v_mul_f64 v[47:48], v[43:44], v[47:48]
	;; [unrolled: 1-line block ×3, first 2 shown]
	s_waitcnt lgkmcnt(3)
	v_mul_f64 v[45:46], v[53:54], -v[3:4]
	v_mul_f64 v[51:52], v[53:54], v[1:2]
	s_waitcnt lgkmcnt(2)
	v_mul_f64 v[55:56], v[53:54], -v[11:12]
	v_mul_f64 v[57:58], v[53:54], v[9:10]
	v_mul_f64 v[61:62], v[47:48], -v[15:16]
	v_mul_f64 v[63:64], v[47:48], v[13:14]
	s_waitcnt lgkmcnt(1)
	v_mul_f64 v[65:66], v[47:48], -v[29:30]
	v_mul_f64 v[67:68], v[47:48], v[27:28]
	v_fma_f64 v[1:2], v[1:2], v[49:50], v[45:46]
	v_fma_f64 v[3:4], v[3:4], v[49:50], v[51:52]
	v_fma_f64 v[9:10], v[9:10], v[49:50], v[55:56]
	v_fma_f64 v[11:12], v[11:12], v[49:50], v[57:58]
	v_mul_f64 v[59:60], v[53:54], v[7:8]
	v_mul_f64 v[53:54], v[53:54], -v[5:6]
	s_waitcnt lgkmcnt(0)
	v_mul_f64 v[69:70], v[47:48], v[33:34]
	v_fma_f64 v[13:14], v[13:14], v[43:44], v[61:62]
	v_fma_f64 v[15:16], v[15:16], v[43:44], v[63:64]
	;; [unrolled: 1-line block ×4, first 2 shown]
	v_add_f64 v[35:36], v[35:36], -v[1:2]
	v_add_f64 v[37:38], v[37:38], -v[3:4]
	;; [unrolled: 1-line block ×4, first 2 shown]
	v_mul_f64 v[45:46], v[47:48], -v[31:32]
	v_fma_f64 v[1:2], -v[5:6], v[49:50], v[59:60]
	v_fma_f64 v[3:4], -v[7:8], v[49:50], v[53:54]
	;; [unrolled: 1-line block ×3, first 2 shown]
	v_add_f64 v[9:10], v[35:36], -v[13:14]
	v_add_f64 v[11:12], v[37:38], -v[15:16]
	;; [unrolled: 1-line block ×4, first 2 shown]
	v_fma_f64 v[7:8], -v[33:34], v[43:44], v[45:46]
.LBB83_18:
	s_or_b64 exec, exec, s[8:9]
	s_barrier
	s_and_saveexec_b64 s[6:7], s[4:5]
	s_cbranch_execz .LBB83_20
; %bb.19:
	ds_write_b128 v26, v[9:12]
	ds_write_b128 v23, v[13:16]
	;; [unrolled: 1-line block ×4, first 2 shown]
.LBB83_20:
	s_or_b64 exec, exec, s[6:7]
	s_waitcnt lgkmcnt(0)
	s_barrier
	s_and_saveexec_b64 s[8:9], s[4:5]
	s_cbranch_execz .LBB83_22
; %bb.21:
	v_sub_u32_e64 v1, v0, 8 clamp
	v_lshlrev_b32_e32 v55, 4, v1
	ds_read_b128 v[1:4], v55 offset:41984
	v_min_u32_e32 v5, 55, v0
	v_lshlrev_b32_e32 v56, 4, v5
	ds_read_b128 v[5:8], v55 offset:40960
	ds_read_b128 v[9:12], v56 offset:42112
	;; [unrolled: 1-line block ×3, first 2 shown]
	s_waitcnt lgkmcnt(3)
	v_mul_f64 v[27:28], v[3:4], v[3:4]
	s_waitcnt lgkmcnt(1)
	v_mul_f64 v[29:30], v[11:12], v[11:12]
	v_fma_f64 v[35:36], v[1:2], v[1:2], v[27:28]
	v_fma_f64 v[43:44], v[9:10], v[9:10], v[29:30]
	v_div_scale_f64 v[27:28], s[6:7], v[35:36], v[35:36], 1.0
	v_div_scale_f64 v[29:30], s[6:7], v[43:44], v[43:44], 1.0
	v_div_scale_f64 v[41:42], s[6:7], 1.0, v[43:44], 1.0
	v_rcp_f64_e32 v[31:32], v[27:28]
	v_rcp_f64_e32 v[33:34], v[29:30]
	v_fma_f64 v[37:38], -v[27:28], v[31:32], 1.0
	v_fma_f64 v[39:40], -v[29:30], v[33:34], 1.0
	v_fma_f64 v[31:32], v[31:32], v[37:38], v[31:32]
	v_div_scale_f64 v[37:38], vcc, 1.0, v[35:36], 1.0
	v_fma_f64 v[33:34], v[33:34], v[39:40], v[33:34]
	v_fma_f64 v[39:40], -v[27:28], v[31:32], 1.0
	v_fma_f64 v[45:46], -v[29:30], v[33:34], 1.0
	v_fma_f64 v[31:32], v[31:32], v[39:40], v[31:32]
	v_fma_f64 v[39:40], v[33:34], v[45:46], v[33:34]
	v_mul_f64 v[33:34], v[37:38], v[31:32]
	v_mul_f64 v[45:46], v[41:42], v[39:40]
	v_fma_f64 v[27:28], -v[27:28], v[33:34], v[37:38]
	v_fma_f64 v[37:38], -v[29:30], v[45:46], v[41:42]
	v_div_fmas_f64 v[41:42], v[27:28], v[31:32], v[33:34]
	ds_read_b128 v[27:30], v25
	ds_read_b128 v[31:34], v24
	s_mov_b64 vcc, s[6:7]
	v_div_fmas_f64 v[45:46], v[37:38], v[39:40], v[45:46]
	s_waitcnt lgkmcnt(1)
	v_mul_f64 v[37:38], v[3:4], -v[27:28]
	v_mul_f64 v[3:4], v[3:4], v[29:30]
	s_waitcnt lgkmcnt(0)
	v_mul_f64 v[47:48], v[11:12], -v[31:32]
	v_mul_f64 v[11:12], v[11:12], v[33:34]
	v_fma_f64 v[29:30], v[29:30], v[1:2], v[37:38]
	v_fma_f64 v[51:52], v[27:28], v[1:2], v[3:4]
	;; [unrolled: 1-line block ×3, first 2 shown]
	v_div_fixup_f64 v[49:50], v[41:42], v[35:36], 1.0
	ds_read_b128 v[35:38], v26
	ds_read_b128 v[39:42], v23
	v_div_fixup_f64 v[43:44], v[45:46], v[43:44], 1.0
	v_fma_f64 v[45:46], v[31:32], v[9:10], v[11:12]
	v_mul_f64 v[53:54], v[49:50], v[29:30]
	ds_read_b128 v[1:4], v55 offset:43008
	ds_read_b128 v[9:12], v55 offset:45056
	;; [unrolled: 1-line block ×4, first 2 shown]
	v_mul_f64 v[49:50], v[49:50], v[51:52]
	v_mul_f64 v[47:48], v[43:44], v[47:48]
	;; [unrolled: 1-line block ×3, first 2 shown]
	s_waitcnt lgkmcnt(3)
	v_mul_f64 v[45:46], v[53:54], -v[3:4]
	v_mul_f64 v[51:52], v[53:54], v[1:2]
	s_waitcnt lgkmcnt(2)
	v_mul_f64 v[55:56], v[53:54], -v[11:12]
	v_mul_f64 v[57:58], v[53:54], v[9:10]
	v_mul_f64 v[61:62], v[47:48], -v[15:16]
	v_mul_f64 v[63:64], v[47:48], v[13:14]
	s_waitcnt lgkmcnt(1)
	v_mul_f64 v[65:66], v[47:48], -v[29:30]
	v_mul_f64 v[67:68], v[47:48], v[27:28]
	v_fma_f64 v[1:2], v[1:2], v[49:50], v[45:46]
	v_fma_f64 v[3:4], v[3:4], v[49:50], v[51:52]
	;; [unrolled: 1-line block ×4, first 2 shown]
	v_mul_f64 v[59:60], v[53:54], v[7:8]
	v_mul_f64 v[53:54], v[53:54], -v[5:6]
	s_waitcnt lgkmcnt(0)
	v_mul_f64 v[69:70], v[47:48], v[33:34]
	v_fma_f64 v[13:14], v[13:14], v[43:44], v[61:62]
	v_fma_f64 v[15:16], v[15:16], v[43:44], v[63:64]
	;; [unrolled: 1-line block ×4, first 2 shown]
	v_add_f64 v[35:36], v[35:36], -v[1:2]
	v_add_f64 v[37:38], v[37:38], -v[3:4]
	;; [unrolled: 1-line block ×4, first 2 shown]
	v_mul_f64 v[45:46], v[47:48], -v[31:32]
	v_fma_f64 v[1:2], -v[5:6], v[49:50], v[59:60]
	v_fma_f64 v[3:4], -v[7:8], v[49:50], v[53:54]
	;; [unrolled: 1-line block ×3, first 2 shown]
	v_add_f64 v[9:10], v[35:36], -v[13:14]
	v_add_f64 v[11:12], v[37:38], -v[15:16]
	;; [unrolled: 1-line block ×4, first 2 shown]
	v_fma_f64 v[7:8], -v[33:34], v[43:44], v[45:46]
.LBB83_22:
	s_or_b64 exec, exec, s[8:9]
	s_barrier
	s_and_saveexec_b64 s[6:7], s[4:5]
	s_cbranch_execz .LBB83_24
; %bb.23:
	ds_write_b128 v26, v[9:12]
	ds_write_b128 v23, v[13:16]
	;; [unrolled: 1-line block ×4, first 2 shown]
.LBB83_24:
	s_or_b64 exec, exec, s[6:7]
	s_waitcnt lgkmcnt(0)
	s_barrier
	s_and_saveexec_b64 s[8:9], s[4:5]
	s_cbranch_execz .LBB83_26
; %bb.25:
	v_sub_u32_e64 v1, v0, 16 clamp
	v_lshlrev_b32_e32 v55, 4, v1
	ds_read_b128 v[1:4], v55 offset:41984
	v_min_u32_e32 v5, 47, v0
	v_lshlrev_b32_e32 v56, 4, v5
	ds_read_b128 v[5:8], v55 offset:40960
	ds_read_b128 v[9:12], v56 offset:42240
	;; [unrolled: 1-line block ×3, first 2 shown]
	s_waitcnt lgkmcnt(3)
	v_mul_f64 v[27:28], v[3:4], v[3:4]
	s_waitcnt lgkmcnt(1)
	v_mul_f64 v[29:30], v[11:12], v[11:12]
	v_fma_f64 v[35:36], v[1:2], v[1:2], v[27:28]
	v_fma_f64 v[43:44], v[9:10], v[9:10], v[29:30]
	v_div_scale_f64 v[27:28], s[6:7], v[35:36], v[35:36], 1.0
	v_div_scale_f64 v[29:30], s[6:7], v[43:44], v[43:44], 1.0
	v_div_scale_f64 v[41:42], s[6:7], 1.0, v[43:44], 1.0
	v_rcp_f64_e32 v[31:32], v[27:28]
	v_rcp_f64_e32 v[33:34], v[29:30]
	v_fma_f64 v[37:38], -v[27:28], v[31:32], 1.0
	v_fma_f64 v[39:40], -v[29:30], v[33:34], 1.0
	v_fma_f64 v[31:32], v[31:32], v[37:38], v[31:32]
	v_div_scale_f64 v[37:38], vcc, 1.0, v[35:36], 1.0
	v_fma_f64 v[33:34], v[33:34], v[39:40], v[33:34]
	v_fma_f64 v[39:40], -v[27:28], v[31:32], 1.0
	v_fma_f64 v[45:46], -v[29:30], v[33:34], 1.0
	v_fma_f64 v[31:32], v[31:32], v[39:40], v[31:32]
	v_fma_f64 v[39:40], v[33:34], v[45:46], v[33:34]
	v_mul_f64 v[33:34], v[37:38], v[31:32]
	v_mul_f64 v[45:46], v[41:42], v[39:40]
	v_fma_f64 v[27:28], -v[27:28], v[33:34], v[37:38]
	v_fma_f64 v[37:38], -v[29:30], v[45:46], v[41:42]
	v_div_fmas_f64 v[41:42], v[27:28], v[31:32], v[33:34]
	ds_read_b128 v[27:30], v25
	ds_read_b128 v[31:34], v24
	s_mov_b64 vcc, s[6:7]
	v_div_fmas_f64 v[45:46], v[37:38], v[39:40], v[45:46]
	s_waitcnt lgkmcnt(1)
	v_mul_f64 v[37:38], v[3:4], -v[27:28]
	v_mul_f64 v[3:4], v[3:4], v[29:30]
	s_waitcnt lgkmcnt(0)
	v_mul_f64 v[47:48], v[11:12], -v[31:32]
	v_mul_f64 v[11:12], v[11:12], v[33:34]
	v_fma_f64 v[29:30], v[29:30], v[1:2], v[37:38]
	v_fma_f64 v[51:52], v[27:28], v[1:2], v[3:4]
	;; [unrolled: 1-line block ×3, first 2 shown]
	v_div_fixup_f64 v[49:50], v[41:42], v[35:36], 1.0
	ds_read_b128 v[35:38], v26
	ds_read_b128 v[39:42], v23
	v_div_fixup_f64 v[43:44], v[45:46], v[43:44], 1.0
	v_fma_f64 v[45:46], v[31:32], v[9:10], v[11:12]
	v_mul_f64 v[53:54], v[49:50], v[29:30]
	ds_read_b128 v[1:4], v55 offset:43008
	ds_read_b128 v[9:12], v55 offset:45056
	;; [unrolled: 1-line block ×4, first 2 shown]
	v_mul_f64 v[49:50], v[49:50], v[51:52]
	v_mul_f64 v[47:48], v[43:44], v[47:48]
	;; [unrolled: 1-line block ×3, first 2 shown]
	s_waitcnt lgkmcnt(3)
	v_mul_f64 v[45:46], v[53:54], -v[3:4]
	v_mul_f64 v[51:52], v[53:54], v[1:2]
	s_waitcnt lgkmcnt(2)
	v_mul_f64 v[55:56], v[53:54], -v[11:12]
	v_mul_f64 v[57:58], v[53:54], v[9:10]
	v_mul_f64 v[61:62], v[47:48], -v[15:16]
	v_mul_f64 v[63:64], v[47:48], v[13:14]
	s_waitcnt lgkmcnt(1)
	v_mul_f64 v[65:66], v[47:48], -v[29:30]
	v_mul_f64 v[67:68], v[47:48], v[27:28]
	v_fma_f64 v[1:2], v[1:2], v[49:50], v[45:46]
	v_fma_f64 v[3:4], v[3:4], v[49:50], v[51:52]
	;; [unrolled: 1-line block ×4, first 2 shown]
	v_mul_f64 v[59:60], v[53:54], v[7:8]
	v_mul_f64 v[53:54], v[53:54], -v[5:6]
	s_waitcnt lgkmcnt(0)
	v_mul_f64 v[69:70], v[47:48], v[33:34]
	v_fma_f64 v[13:14], v[13:14], v[43:44], v[61:62]
	v_fma_f64 v[15:16], v[15:16], v[43:44], v[63:64]
	;; [unrolled: 1-line block ×4, first 2 shown]
	v_add_f64 v[35:36], v[35:36], -v[1:2]
	v_add_f64 v[37:38], v[37:38], -v[3:4]
	;; [unrolled: 1-line block ×4, first 2 shown]
	v_mul_f64 v[45:46], v[47:48], -v[31:32]
	v_fma_f64 v[1:2], -v[5:6], v[49:50], v[59:60]
	v_fma_f64 v[3:4], -v[7:8], v[49:50], v[53:54]
	;; [unrolled: 1-line block ×3, first 2 shown]
	v_add_f64 v[9:10], v[35:36], -v[13:14]
	v_add_f64 v[11:12], v[37:38], -v[15:16]
	;; [unrolled: 1-line block ×4, first 2 shown]
	v_fma_f64 v[7:8], -v[33:34], v[43:44], v[45:46]
.LBB83_26:
	s_or_b64 exec, exec, s[8:9]
	s_barrier
	s_and_saveexec_b64 s[6:7], s[4:5]
	s_cbranch_execz .LBB83_28
; %bb.27:
	ds_write_b128 v26, v[9:12]
	ds_write_b128 v23, v[13:16]
	;; [unrolled: 1-line block ×4, first 2 shown]
.LBB83_28:
	s_or_b64 exec, exec, s[6:7]
	v_cmp_gt_u32_e32 vcc, 32, v0
	s_waitcnt lgkmcnt(0)
	s_barrier
	s_and_saveexec_b64 s[6:7], vcc
	s_cbranch_execz .LBB83_30
; %bb.29:
	ds_read_b128 v[1:4], v26
	ds_read_b128 v[5:8], v26 offset:512
	ds_read_b128 v[9:12], v25 offset:512
	ds_read_b128 v[13:16], v24
	s_waitcnt lgkmcnt(2)
	v_mul_f64 v[24:25], v[3:4], v[5:6]
	v_mul_f64 v[28:29], v[3:4], -v[7:8]
	s_waitcnt lgkmcnt(0)
	v_mul_f64 v[26:27], v[11:12], v[13:14]
	v_mul_f64 v[30:31], v[11:12], -v[15:16]
	v_fma_f64 v[24:25], v[7:8], v[1:2], v[24:25]
	v_fma_f64 v[28:29], v[5:6], v[1:2], v[28:29]
	v_fma_f64 v[26:27], v[15:16], v[9:10], v[26:27]
	v_fma_f64 v[30:31], v[13:14], v[9:10], v[30:31]
	v_add_f64 v[32:33], v[24:25], -v[26:27]
	v_add_f64 v[34:35], v[28:29], -v[30:31]
	v_mul_f64 v[24:25], v[32:33], v[32:33]
	v_fma_f64 v[36:37], v[34:35], v[34:35], v[24:25]
	v_div_scale_f64 v[24:25], s[8:9], v[36:37], v[36:37], 1.0
	v_rcp_f64_e32 v[26:27], v[24:25]
	v_fma_f64 v[28:29], -v[24:25], v[26:27], 1.0
	v_fma_f64 v[26:27], v[26:27], v[28:29], v[26:27]
	v_div_scale_f64 v[28:29], vcc, 1.0, v[36:37], 1.0
	v_fma_f64 v[30:31], -v[24:25], v[26:27], 1.0
	v_fma_f64 v[38:39], v[26:27], v[30:31], v[26:27]
	v_mul_f64 v[40:41], v[28:29], v[38:39]
	v_fma_f64 v[42:43], -v[24:25], v[40:41], v[28:29]
	ds_read_b128 v[24:27], v23
	ds_read_b128 v[28:31], v23 offset:512
	s_waitcnt lgkmcnt(1)
	v_mul_f64 v[50:51], v[11:12], -v[26:27]
	s_waitcnt lgkmcnt(0)
	v_mul_f64 v[44:45], v[30:31], -v[15:16]
	v_mul_f64 v[46:47], v[13:14], v[30:31]
	v_div_fmas_f64 v[38:39], v[42:43], v[38:39], v[40:41]
	v_mul_f64 v[40:41], v[26:27], -v[7:8]
	v_mul_f64 v[42:43], v[5:6], v[26:27]
	v_mul_f64 v[48:49], v[3:4], -v[30:31]
	v_mul_f64 v[3:4], v[3:4], v[28:29]
	v_mul_f64 v[11:12], v[11:12], v[24:25]
	v_fma_f64 v[13:14], v[13:14], v[28:29], v[44:45]
	v_fma_f64 v[15:16], v[15:16], v[28:29], v[46:47]
	;; [unrolled: 1-line block ×4, first 2 shown]
	v_fma_f64 v[40:41], v[34:35], 0, -v[32:33]
	v_fma_f64 v[28:29], v[28:29], v[1:2], v[48:49]
	v_fma_f64 v[1:2], v[30:31], v[1:2], v[3:4]
	;; [unrolled: 1-line block ×4, first 2 shown]
	v_div_fixup_f64 v[36:37], v[38:39], v[36:37], 1.0
	v_fma_f64 v[11:12], v[32:33], 0, v[34:35]
	v_add_f64 v[7:8], v[7:8], -v[15:16]
	v_add_f64 v[5:6], v[5:6], -v[13:14]
	;; [unrolled: 1-line block ×4, first 2 shown]
	v_mul_f64 v[15:16], v[40:41], v[36:37]
	v_mul_f64 v[11:12], v[11:12], v[36:37]
	v_mul_f64 v[1:2], v[15:16], -v[7:8]
	v_mul_f64 v[3:4], v[15:16], v[5:6]
	v_mul_f64 v[23:24], v[15:16], -v[13:14]
	v_mul_f64 v[15:16], v[15:16], v[9:10]
	v_fma_f64 v[1:2], v[5:6], v[11:12], v[1:2]
	v_fma_f64 v[3:4], v[7:8], v[11:12], v[3:4]
	;; [unrolled: 1-line block ×4, first 2 shown]
	ds_write_b128 v21, v[1:4] offset:44032
	ds_write_b128 v21, v[5:8] offset:44544
.LBB83_30:
	s_or_b64 exec, exec, s[6:7]
	s_waitcnt lgkmcnt(0)
	s_barrier
	s_and_saveexec_b64 s[6:7], s[4:5]
	s_cbranch_execz .LBB83_32
; %bb.31:
	ds_read_b128 v[1:4], v21 offset:44032
	s_waitcnt lgkmcnt(0)
	ds_write_b128 v22, v[1:4] offset:24560
.LBB83_32:
	s_or_b64 exec, exec, s[6:7]
	s_waitcnt lgkmcnt(0)
	s_barrier
	s_and_saveexec_b64 s[6:7], s[4:5]
	s_cbranch_execz .LBB83_38
; %bb.33:
	v_lshlrev_b32_e32 v1, 3, v0
	v_mov_b32_e32 v2, 0x8000
	v_cmp_ne_u32_e32 vcc, 0, v0
	v_lshl_or_b32 v6, v0, 7, v2
	v_lshlrev_b32_e32 v5, 4, v1
                                        ; implicit-def: $vgpr3_vgpr4
	s_and_saveexec_b64 s[4:5], vcc
	s_xor_b64 s[4:5], exec, s[4:5]
	s_cbranch_execz .LBB83_35
; %bb.34:
	ds_read_b128 v[1:4], v5 offset:8240
	s_waitcnt lgkmcnt(0)
	v_mul_f64 v[7:8], v[3:4], v[3:4]
	v_fma_f64 v[30:31], v[1:2], v[1:2], v[7:8]
	v_div_scale_f64 v[32:33], s[8:9], v[30:31], v[30:31], 1.0
	v_div_scale_f64 v[34:35], vcc, 1.0, v[30:31], 1.0
	v_rcp_f64_e32 v[7:8], v[32:33]
	v_fma_f64 v[9:10], -v[32:33], v[7:8], 1.0
	v_fma_f64 v[15:16], v[7:8], v[9:10], v[7:8]
	ds_read_b128 v[7:10], v5 offset:48
	ds_read_b128 v[11:14], v5 offset:24560
	;; [unrolled: 1-line block ×4, first 2 shown]
	s_waitcnt lgkmcnt(2)
	v_mul_f64 v[38:39], v[13:14], v[7:8]
	v_mul_f64 v[40:41], v[13:14], -v[9:10]
	v_fma_f64 v[36:37], -v[32:33], v[15:16], 1.0
	v_fma_f64 v[9:10], v[9:10], v[11:12], v[38:39]
	v_fma_f64 v[36:37], v[15:16], v[36:37], v[15:16]
	ds_read_b128 v[13:16], v6 offset:48
	s_waitcnt lgkmcnt(1)
	v_mul_f64 v[42:43], v[28:29], v[22:23]
	v_mul_f64 v[28:29], v[28:29], -v[24:25]
	v_fma_f64 v[6:7], v[7:8], v[11:12], v[40:41]
	s_waitcnt lgkmcnt(0)
	v_add_f64 v[8:9], v[15:16], -v[9:10]
	v_mul_f64 v[38:39], v[34:35], v[36:37]
	v_fma_f64 v[11:12], v[24:25], v[26:27], v[42:43]
	v_fma_f64 v[15:16], v[22:23], v[26:27], v[28:29]
	v_add_f64 v[6:7], v[13:14], -v[6:7]
	v_fma_f64 v[22:23], -v[32:33], v[38:39], v[34:35]
	v_add_f64 v[8:9], v[8:9], -v[11:12]
	v_add_f64 v[6:7], v[6:7], -v[15:16]
	v_div_fmas_f64 v[10:11], v[22:23], v[36:37], v[38:39]
	v_mul_f64 v[12:13], v[3:4], v[8:9]
	v_mul_f64 v[3:4], v[3:4], -v[6:7]
	v_fma_f64 v[6:7], v[6:7], v[1:2], v[12:13]
	v_fma_f64 v[3:4], v[8:9], v[1:2], v[3:4]
	v_div_fixup_f64 v[10:11], v[10:11], v[30:31], 1.0
	v_mul_f64 v[1:2], v[6:7], v[10:11]
	v_mul_f64 v[3:4], v[10:11], v[3:4]
                                        ; implicit-def: $vgpr6
.LBB83_35:
	s_andn2_saveexec_b64 s[4:5], s[4:5]
	s_cbranch_execz .LBB83_37
; %bb.36:
	ds_read_b128 v[1:4], v5 offset:8240
	s_waitcnt lgkmcnt(0)
	v_mul_f64 v[7:8], v[3:4], v[3:4]
	v_fma_f64 v[15:16], v[1:2], v[1:2], v[7:8]
	v_div_scale_f64 v[26:27], s[8:9], v[15:16], v[15:16], 1.0
	v_div_scale_f64 v[28:29], vcc, 1.0, v[15:16], 1.0
	v_rcp_f64_e32 v[7:8], v[26:27]
	v_fma_f64 v[9:10], -v[26:27], v[7:8], 1.0
	v_fma_f64 v[11:12], v[7:8], v[9:10], v[7:8]
	ds_read_b128 v[7:10], v5 offset:16432
	v_fma_f64 v[13:14], -v[26:27], v[11:12], 1.0
	v_fma_f64 v[30:31], v[11:12], v[13:14], v[11:12]
	ds_read_b128 v[11:14], v5 offset:24688
	ds_read_b128 v[22:25], v6 offset:48
	s_waitcnt lgkmcnt(1)
	v_mul_f64 v[32:33], v[13:14], v[7:8]
	v_mul_f64 v[13:14], v[13:14], -v[9:10]
	v_mul_f64 v[34:35], v[28:29], v[30:31]
	v_fma_f64 v[9:10], v[9:10], v[11:12], v[32:33]
	v_fma_f64 v[6:7], v[7:8], v[11:12], v[13:14]
	v_fma_f64 v[26:27], -v[26:27], v[34:35], v[28:29]
	s_waitcnt lgkmcnt(0)
	v_add_f64 v[8:9], v[24:25], -v[9:10]
	v_add_f64 v[6:7], v[22:23], -v[6:7]
	v_div_fmas_f64 v[10:11], v[26:27], v[30:31], v[34:35]
	v_mul_f64 v[12:13], v[8:9], v[3:4]
	v_mul_f64 v[3:4], v[3:4], -v[6:7]
	v_fma_f64 v[6:7], v[6:7], v[1:2], v[12:13]
	v_fma_f64 v[3:4], v[8:9], v[1:2], v[3:4]
	v_div_fixup_f64 v[10:11], v[10:11], v[15:16], 1.0
	v_mul_f64 v[1:2], v[6:7], v[10:11]
	v_mul_f64 v[3:4], v[3:4], v[10:11]
.LBB83_37:
	s_or_b64 exec, exec, s[4:5]
	ds_write_b128 v5, v[1:4] offset:24624
.LBB83_38:
	s_or_b64 exec, exec, s[6:7]
	s_waitcnt lgkmcnt(0)
	s_barrier
	s_and_saveexec_b64 s[4:5], s[2:3]
	s_cbranch_execz .LBB83_44
; %bb.39:
	v_lshlrev_b32_e32 v1, 2, v0
	v_mov_b32_e32 v2, 0x8000
	v_cmp_ne_u32_e32 vcc, 0, v0
	v_lshl_or_b32 v6, v0, 6, v2
	v_lshlrev_b32_e32 v5, 4, v1
                                        ; implicit-def: $vgpr3_vgpr4
	s_and_saveexec_b64 s[2:3], vcc
	s_xor_b64 s[2:3], exec, s[2:3]
	s_cbranch_execz .LBB83_41
; %bb.40:
	ds_read_b128 v[1:4], v5 offset:8208
	s_waitcnt lgkmcnt(0)
	v_mul_f64 v[7:8], v[3:4], v[3:4]
	v_fma_f64 v[30:31], v[1:2], v[1:2], v[7:8]
	v_div_scale_f64 v[32:33], s[6:7], v[30:31], v[30:31], 1.0
	v_div_scale_f64 v[34:35], vcc, 1.0, v[30:31], 1.0
	v_rcp_f64_e32 v[7:8], v[32:33]
	v_fma_f64 v[9:10], -v[32:33], v[7:8], 1.0
	v_fma_f64 v[15:16], v[7:8], v[9:10], v[7:8]
	ds_read_b128 v[7:10], v5 offset:16
	ds_read_b128 v[11:14], v5 offset:24560
	ds_read_b128 v[22:25], v5 offset:16400
	ds_read_b128 v[26:29], v5 offset:24624
	s_waitcnt lgkmcnt(2)
	v_mul_f64 v[38:39], v[13:14], v[7:8]
	v_mul_f64 v[40:41], v[13:14], -v[9:10]
	v_fma_f64 v[36:37], -v[32:33], v[15:16], 1.0
	v_fma_f64 v[9:10], v[9:10], v[11:12], v[38:39]
	v_fma_f64 v[36:37], v[15:16], v[36:37], v[15:16]
	ds_read_b128 v[13:16], v6 offset:16
	s_waitcnt lgkmcnt(1)
	v_mul_f64 v[42:43], v[28:29], v[22:23]
	v_mul_f64 v[28:29], v[28:29], -v[24:25]
	v_fma_f64 v[6:7], v[7:8], v[11:12], v[40:41]
	s_waitcnt lgkmcnt(0)
	v_add_f64 v[8:9], v[15:16], -v[9:10]
	v_mul_f64 v[38:39], v[34:35], v[36:37]
	v_fma_f64 v[11:12], v[24:25], v[26:27], v[42:43]
	v_fma_f64 v[15:16], v[22:23], v[26:27], v[28:29]
	v_add_f64 v[6:7], v[13:14], -v[6:7]
	v_fma_f64 v[22:23], -v[32:33], v[38:39], v[34:35]
	v_add_f64 v[8:9], v[8:9], -v[11:12]
	v_add_f64 v[6:7], v[6:7], -v[15:16]
	v_div_fmas_f64 v[10:11], v[22:23], v[36:37], v[38:39]
	v_mul_f64 v[12:13], v[3:4], v[8:9]
	v_mul_f64 v[3:4], v[3:4], -v[6:7]
	v_fma_f64 v[6:7], v[6:7], v[1:2], v[12:13]
	v_fma_f64 v[3:4], v[8:9], v[1:2], v[3:4]
	v_div_fixup_f64 v[10:11], v[10:11], v[30:31], 1.0
	v_mul_f64 v[1:2], v[6:7], v[10:11]
	v_mul_f64 v[3:4], v[10:11], v[3:4]
                                        ; implicit-def: $vgpr6
.LBB83_41:
	s_andn2_saveexec_b64 s[2:3], s[2:3]
	s_cbranch_execz .LBB83_43
; %bb.42:
	ds_read_b128 v[1:4], v5 offset:8208
	s_waitcnt lgkmcnt(0)
	v_mul_f64 v[7:8], v[3:4], v[3:4]
	v_fma_f64 v[15:16], v[1:2], v[1:2], v[7:8]
	v_div_scale_f64 v[26:27], s[6:7], v[15:16], v[15:16], 1.0
	v_div_scale_f64 v[28:29], vcc, 1.0, v[15:16], 1.0
	v_rcp_f64_e32 v[7:8], v[26:27]
	v_fma_f64 v[9:10], -v[26:27], v[7:8], 1.0
	v_fma_f64 v[11:12], v[7:8], v[9:10], v[7:8]
	ds_read_b128 v[7:10], v5 offset:16400
	v_fma_f64 v[13:14], -v[26:27], v[11:12], 1.0
	v_fma_f64 v[30:31], v[11:12], v[13:14], v[11:12]
	ds_read_b128 v[11:14], v5 offset:24624
	ds_read_b128 v[22:25], v6 offset:16
	s_waitcnt lgkmcnt(1)
	v_mul_f64 v[32:33], v[13:14], v[7:8]
	v_mul_f64 v[13:14], v[13:14], -v[9:10]
	v_mul_f64 v[34:35], v[28:29], v[30:31]
	v_fma_f64 v[9:10], v[9:10], v[11:12], v[32:33]
	v_fma_f64 v[6:7], v[7:8], v[11:12], v[13:14]
	v_fma_f64 v[26:27], -v[26:27], v[34:35], v[28:29]
	s_waitcnt lgkmcnt(0)
	v_add_f64 v[8:9], v[24:25], -v[9:10]
	v_add_f64 v[6:7], v[22:23], -v[6:7]
	v_div_fmas_f64 v[10:11], v[26:27], v[30:31], v[34:35]
	v_mul_f64 v[12:13], v[8:9], v[3:4]
	v_mul_f64 v[3:4], v[3:4], -v[6:7]
	v_fma_f64 v[6:7], v[6:7], v[1:2], v[12:13]
	v_fma_f64 v[3:4], v[8:9], v[1:2], v[3:4]
	v_div_fixup_f64 v[10:11], v[10:11], v[15:16], 1.0
	v_mul_f64 v[1:2], v[6:7], v[10:11]
	v_mul_f64 v[3:4], v[3:4], v[10:11]
.LBB83_43:
	s_or_b64 exec, exec, s[2:3]
	ds_write_b128 v5, v[1:4] offset:24592
.LBB83_44:
	s_or_b64 exec, exec, s[4:5]
	s_waitcnt lgkmcnt(0)
	s_barrier
	s_and_saveexec_b64 s[2:3], s[0:1]
	s_cbranch_execz .LBB83_50
; %bb.45:
	v_lshlrev_b32_e32 v1, 1, v0
	v_mov_b32_e32 v2, 0x8000
	v_cmp_ne_u32_e32 vcc, 0, v0
	v_lshl_or_b32 v5, v0, 5, v2
	v_lshlrev_b32_e32 v4, 4, v1
                                        ; implicit-def: $vgpr2_vgpr3
	s_and_saveexec_b64 s[0:1], vcc
	s_xor_b64 s[0:1], exec, s[0:1]
	s_cbranch_execz .LBB83_47
; %bb.46:
	ds_read_b128 v[0:3], v4 offset:8192
	s_waitcnt lgkmcnt(0)
	v_mul_f64 v[6:7], v[2:3], v[2:3]
	v_fma_f64 v[30:31], v[0:1], v[0:1], v[6:7]
	v_div_scale_f64 v[32:33], s[4:5], v[30:31], v[30:31], 1.0
	v_div_scale_f64 v[34:35], vcc, 1.0, v[30:31], 1.0
	v_rcp_f64_e32 v[6:7], v[32:33]
	v_fma_f64 v[8:9], -v[32:33], v[6:7], 1.0
	v_fma_f64 v[14:15], v[6:7], v[8:9], v[6:7]
	ds_read_b128 v[6:9], v4
	ds_read_b128 v[10:13], v4 offset:24560
	ds_read_b128 v[22:25], v4 offset:16384
	;; [unrolled: 1-line block ×3, first 2 shown]
	s_waitcnt lgkmcnt(2)
	v_mul_f64 v[38:39], v[12:13], v[6:7]
	v_mul_f64 v[40:41], v[12:13], -v[8:9]
	v_fma_f64 v[36:37], -v[32:33], v[14:15], 1.0
	v_fma_f64 v[8:9], v[8:9], v[10:11], v[38:39]
	v_fma_f64 v[36:37], v[14:15], v[36:37], v[14:15]
	ds_read_b128 v[12:15], v5
	s_waitcnt lgkmcnt(1)
	v_mul_f64 v[42:43], v[28:29], v[22:23]
	v_mul_f64 v[28:29], v[28:29], -v[24:25]
	v_fma_f64 v[5:6], v[6:7], v[10:11], v[40:41]
	s_waitcnt lgkmcnt(0)
	v_add_f64 v[7:8], v[14:15], -v[8:9]
	v_mul_f64 v[38:39], v[34:35], v[36:37]
	v_fma_f64 v[10:11], v[24:25], v[26:27], v[42:43]
	v_fma_f64 v[14:15], v[22:23], v[26:27], v[28:29]
	v_add_f64 v[5:6], v[12:13], -v[5:6]
	v_fma_f64 v[22:23], -v[32:33], v[38:39], v[34:35]
	v_add_f64 v[7:8], v[7:8], -v[10:11]
	v_add_f64 v[5:6], v[5:6], -v[14:15]
	v_div_fmas_f64 v[9:10], v[22:23], v[36:37], v[38:39]
	v_mul_f64 v[11:12], v[2:3], v[7:8]
	v_mul_f64 v[2:3], v[2:3], -v[5:6]
	v_fma_f64 v[5:6], v[5:6], v[0:1], v[11:12]
	v_fma_f64 v[2:3], v[7:8], v[0:1], v[2:3]
	v_div_fixup_f64 v[9:10], v[9:10], v[30:31], 1.0
	v_mul_f64 v[0:1], v[5:6], v[9:10]
	v_mul_f64 v[2:3], v[9:10], v[2:3]
                                        ; implicit-def: $vgpr5
.LBB83_47:
	s_andn2_saveexec_b64 s[0:1], s[0:1]
	s_cbranch_execz .LBB83_49
; %bb.48:
	ds_read_b128 v[0:3], v4 offset:8192
	s_waitcnt lgkmcnt(0)
	v_mul_f64 v[6:7], v[2:3], v[2:3]
	v_fma_f64 v[14:15], v[0:1], v[0:1], v[6:7]
	v_div_scale_f64 v[26:27], s[4:5], v[14:15], v[14:15], 1.0
	v_div_scale_f64 v[28:29], vcc, 1.0, v[14:15], 1.0
	v_rcp_f64_e32 v[6:7], v[26:27]
	v_fma_f64 v[8:9], -v[26:27], v[6:7], 1.0
	v_fma_f64 v[10:11], v[6:7], v[8:9], v[6:7]
	ds_read_b128 v[6:9], v4 offset:16384
	v_fma_f64 v[12:13], -v[26:27], v[10:11], 1.0
	v_fma_f64 v[30:31], v[10:11], v[12:13], v[10:11]
	ds_read_b128 v[10:13], v4 offset:24592
	ds_read_b128 v[22:25], v5
	s_waitcnt lgkmcnt(1)
	v_mul_f64 v[32:33], v[12:13], v[6:7]
	v_mul_f64 v[12:13], v[12:13], -v[8:9]
	v_mul_f64 v[34:35], v[28:29], v[30:31]
	v_fma_f64 v[8:9], v[8:9], v[10:11], v[32:33]
	v_fma_f64 v[5:6], v[6:7], v[10:11], v[12:13]
	v_fma_f64 v[26:27], -v[26:27], v[34:35], v[28:29]
	s_waitcnt lgkmcnt(0)
	v_add_f64 v[7:8], v[24:25], -v[8:9]
	v_add_f64 v[5:6], v[22:23], -v[5:6]
	v_div_fmas_f64 v[9:10], v[26:27], v[30:31], v[34:35]
	v_mul_f64 v[11:12], v[7:8], v[2:3]
	v_mul_f64 v[2:3], v[2:3], -v[5:6]
	v_fma_f64 v[5:6], v[5:6], v[0:1], v[11:12]
	v_fma_f64 v[2:3], v[7:8], v[0:1], v[2:3]
	v_div_fixup_f64 v[9:10], v[9:10], v[14:15], 1.0
	v_mul_f64 v[0:1], v[5:6], v[9:10]
	v_mul_f64 v[2:3], v[2:3], v[9:10]
.LBB83_49:
	s_or_b64 exec, exec, s[0:1]
	ds_write_b128 v4, v[0:3] offset:24576
.LBB83_50:
	s_or_b64 exec, exec, s[2:3]
	v_or_b32_e32 v0, 0x6000, v21
	v_or_b32_e32 v4, 0x7000, v21
	s_waitcnt lgkmcnt(0)
	s_barrier
	ds_read2_b64 v[0:3], v0 offset1:1
	ds_read2_b64 v[4:7], v4 offset1:1
	s_waitcnt lgkmcnt(1)
	global_store_dwordx4 v[17:18], v[0:3], off
	s_waitcnt lgkmcnt(0)
	global_store_dwordx4 v[19:20], v[4:7], off
	s_endpgm
	.section	.rodata,"a",@progbits
	.p2align	6, 0x0
	.amdhsa_kernel _ZN9rocsparseL37gtsv_nopivot_crpcr_pow2_shared_kernelILj256ELj64E21rocsparse_complex_numIdEEEviiiPKT1_S5_S5_PS3_
		.amdhsa_group_segment_fixed_size 46080
		.amdhsa_private_segment_fixed_size 0
		.amdhsa_kernarg_size 48
		.amdhsa_user_sgpr_count 6
		.amdhsa_user_sgpr_private_segment_buffer 1
		.amdhsa_user_sgpr_dispatch_ptr 0
		.amdhsa_user_sgpr_queue_ptr 0
		.amdhsa_user_sgpr_kernarg_segment_ptr 1
		.amdhsa_user_sgpr_dispatch_id 0
		.amdhsa_user_sgpr_flat_scratch_init 0
		.amdhsa_user_sgpr_private_segment_size 0
		.amdhsa_uses_dynamic_stack 0
		.amdhsa_system_sgpr_private_segment_wavefront_offset 0
		.amdhsa_system_sgpr_workgroup_id_x 1
		.amdhsa_system_sgpr_workgroup_id_y 0
		.amdhsa_system_sgpr_workgroup_id_z 0
		.amdhsa_system_sgpr_workgroup_info 0
		.amdhsa_system_vgpr_workitem_id 0
		.amdhsa_next_free_vgpr 129
		.amdhsa_next_free_sgpr 98
		.amdhsa_reserve_vcc 1
		.amdhsa_reserve_flat_scratch 0
		.amdhsa_float_round_mode_32 0
		.amdhsa_float_round_mode_16_64 0
		.amdhsa_float_denorm_mode_32 3
		.amdhsa_float_denorm_mode_16_64 3
		.amdhsa_dx10_clamp 1
		.amdhsa_ieee_mode 1
		.amdhsa_fp16_overflow 0
		.amdhsa_exception_fp_ieee_invalid_op 0
		.amdhsa_exception_fp_denorm_src 0
		.amdhsa_exception_fp_ieee_div_zero 0
		.amdhsa_exception_fp_ieee_overflow 0
		.amdhsa_exception_fp_ieee_underflow 0
		.amdhsa_exception_fp_ieee_inexact 0
		.amdhsa_exception_int_div_zero 0
	.end_amdhsa_kernel
	.section	.text._ZN9rocsparseL37gtsv_nopivot_crpcr_pow2_shared_kernelILj256ELj64E21rocsparse_complex_numIdEEEviiiPKT1_S5_S5_PS3_,"axG",@progbits,_ZN9rocsparseL37gtsv_nopivot_crpcr_pow2_shared_kernelILj256ELj64E21rocsparse_complex_numIdEEEviiiPKT1_S5_S5_PS3_,comdat
.Lfunc_end83:
	.size	_ZN9rocsparseL37gtsv_nopivot_crpcr_pow2_shared_kernelILj256ELj64E21rocsparse_complex_numIdEEEviiiPKT1_S5_S5_PS3_, .Lfunc_end83-_ZN9rocsparseL37gtsv_nopivot_crpcr_pow2_shared_kernelILj256ELj64E21rocsparse_complex_numIdEEEviiiPKT1_S5_S5_PS3_
                                        ; -- End function
	.set _ZN9rocsparseL37gtsv_nopivot_crpcr_pow2_shared_kernelILj256ELj64E21rocsparse_complex_numIdEEEviiiPKT1_S5_S5_PS3_.num_vgpr, 73
	.set _ZN9rocsparseL37gtsv_nopivot_crpcr_pow2_shared_kernelILj256ELj64E21rocsparse_complex_numIdEEEviiiPKT1_S5_S5_PS3_.num_agpr, 0
	.set _ZN9rocsparseL37gtsv_nopivot_crpcr_pow2_shared_kernelILj256ELj64E21rocsparse_complex_numIdEEEviiiPKT1_S5_S5_PS3_.numbered_sgpr, 16
	.set _ZN9rocsparseL37gtsv_nopivot_crpcr_pow2_shared_kernelILj256ELj64E21rocsparse_complex_numIdEEEviiiPKT1_S5_S5_PS3_.num_named_barrier, 0
	.set _ZN9rocsparseL37gtsv_nopivot_crpcr_pow2_shared_kernelILj256ELj64E21rocsparse_complex_numIdEEEviiiPKT1_S5_S5_PS3_.private_seg_size, 0
	.set _ZN9rocsparseL37gtsv_nopivot_crpcr_pow2_shared_kernelILj256ELj64E21rocsparse_complex_numIdEEEviiiPKT1_S5_S5_PS3_.uses_vcc, 1
	.set _ZN9rocsparseL37gtsv_nopivot_crpcr_pow2_shared_kernelILj256ELj64E21rocsparse_complex_numIdEEEviiiPKT1_S5_S5_PS3_.uses_flat_scratch, 0
	.set _ZN9rocsparseL37gtsv_nopivot_crpcr_pow2_shared_kernelILj256ELj64E21rocsparse_complex_numIdEEEviiiPKT1_S5_S5_PS3_.has_dyn_sized_stack, 0
	.set _ZN9rocsparseL37gtsv_nopivot_crpcr_pow2_shared_kernelILj256ELj64E21rocsparse_complex_numIdEEEviiiPKT1_S5_S5_PS3_.has_recursion, 0
	.set _ZN9rocsparseL37gtsv_nopivot_crpcr_pow2_shared_kernelILj256ELj64E21rocsparse_complex_numIdEEEviiiPKT1_S5_S5_PS3_.has_indirect_call, 0
	.section	.AMDGPU.csdata,"",@progbits
; Kernel info:
; codeLenInByte = 9216
; TotalNumSgprs: 20
; NumVgprs: 73
; ScratchSize: 0
; MemoryBound: 0
; FloatMode: 240
; IeeeMode: 1
; LDSByteSize: 46080 bytes/workgroup (compile time only)
; SGPRBlocks: 12
; VGPRBlocks: 32
; NumSGPRsForWavesPerEU: 102
; NumVGPRsForWavesPerEU: 129
; Occupancy: 1
; WaveLimiterHint : 0
; COMPUTE_PGM_RSRC2:SCRATCH_EN: 0
; COMPUTE_PGM_RSRC2:USER_SGPR: 6
; COMPUTE_PGM_RSRC2:TRAP_HANDLER: 0
; COMPUTE_PGM_RSRC2:TGID_X_EN: 1
; COMPUTE_PGM_RSRC2:TGID_Y_EN: 0
; COMPUTE_PGM_RSRC2:TGID_Z_EN: 0
; COMPUTE_PGM_RSRC2:TIDIG_COMP_CNT: 0
	.section	.text._ZN9rocsparseL30gtsv_nopivot_pcr_shared_kernelILj4E21rocsparse_complex_numIdEEEviiiPKT0_S5_S5_PS3_,"axG",@progbits,_ZN9rocsparseL30gtsv_nopivot_pcr_shared_kernelILj4E21rocsparse_complex_numIdEEEviiiPKT0_S5_S5_PS3_,comdat
	.globl	_ZN9rocsparseL30gtsv_nopivot_pcr_shared_kernelILj4E21rocsparse_complex_numIdEEEviiiPKT0_S5_S5_PS3_ ; -- Begin function _ZN9rocsparseL30gtsv_nopivot_pcr_shared_kernelILj4E21rocsparse_complex_numIdEEEviiiPKT0_S5_S5_PS3_
	.p2align	8
	.type	_ZN9rocsparseL30gtsv_nopivot_pcr_shared_kernelILj4E21rocsparse_complex_numIdEEEviiiPKT0_S5_S5_PS3_,@function
_ZN9rocsparseL30gtsv_nopivot_pcr_shared_kernelILj4E21rocsparse_complex_numIdEEEviiiPKT0_S5_S5_PS3_: ; @_ZN9rocsparseL30gtsv_nopivot_pcr_shared_kernelILj4E21rocsparse_complex_numIdEEEviiiPKT0_S5_S5_PS3_
; %bb.0:
	s_load_dword s7, s[4:5], 0x0
	v_mov_b32_e32 v1, 0
	v_mov_b32_e32 v5, 0
	;; [unrolled: 1-line block ×5, first 2 shown]
	s_waitcnt lgkmcnt(0)
	v_cmp_gt_i32_e64 s[0:1], s7, v0
	v_mov_b32_e32 v8, 0
	v_lshlrev_b32_e32 v11, 4, v0
	s_and_saveexec_b64 s[2:3], s[0:1]
	s_cbranch_execz .LBB84_2
; %bb.1:
	s_load_dwordx2 s[8:9], s[4:5], 0x10
	s_waitcnt lgkmcnt(0)
	global_load_dwordx4 v[5:8], v11, s[8:9]
.LBB84_2:
	s_or_b64 exec, exec, s[2:3]
	v_mov_b32_e32 v3, 0
	v_mov_b32_e32 v4, 0
	s_waitcnt vmcnt(0)
	ds_write_b128 v11, v[5:8]
	s_and_saveexec_b64 s[2:3], s[0:1]
	s_cbranch_execz .LBB84_4
; %bb.3:
	s_load_dwordx2 s[8:9], s[4:5], 0x18
	s_waitcnt lgkmcnt(0)
	global_load_dwordx4 v[1:4], v11, s[8:9]
.LBB84_4:
	s_or_b64 exec, exec, s[2:3]
	s_load_dwordx2 s[2:3], s[4:5], 0x28
	v_mov_b32_e32 v5, 0
	v_mov_b32_e32 v7, 0
	;; [unrolled: 1-line block ×6, first 2 shown]
	s_waitcnt vmcnt(0)
	ds_write_b128 v11, v[1:4] offset:64
	s_and_saveexec_b64 s[8:9], s[0:1]
	s_cbranch_execz .LBB84_6
; %bb.5:
	s_load_dwordx2 s[10:11], s[4:5], 0x20
	s_waitcnt lgkmcnt(0)
	global_load_dwordx4 v[7:10], v11, s[10:11]
.LBB84_6:
	s_or_b64 exec, exec, s[8:9]
	s_load_dword s4, s[4:5], 0x8
	s_waitcnt vmcnt(0)
	ds_write_b128 v11, v[7:10] offset:128
	v_mov_b32_e32 v7, 0
	v_or_b32_e32 v12, 64, v11
	v_or_b32_e32 v13, 0x80, v11
	s_waitcnt lgkmcnt(0)
	s_mul_i32 s4, s4, s6
	v_mov_b32_e32 v8, 0
	v_add_u32_e32 v9, s4, v0
	s_and_saveexec_b64 s[4:5], s[0:1]
	s_cbranch_execz .LBB84_8
; %bb.7:
	v_mov_b32_e32 v10, 0
	v_lshlrev_b64 v[1:2], 4, v[9:10]
	v_mov_b32_e32 v3, s3
	v_add_co_u32_e32 v1, vcc, s2, v1
	v_addc_co_u32_e32 v2, vcc, v3, v2, vcc
	global_load_dwordx4 v[5:8], v[1:2], off
.LBB84_8:
	s_or_b64 exec, exec, s[4:5]
	v_sub_u32_e64 v1, v0, 1 clamp
	v_lshlrev_b32_e32 v10, 4, v1
	s_waitcnt vmcnt(0)
	ds_write_b128 v11, v[5:8] offset:256
	s_waitcnt lgkmcnt(0)
	; wave barrier
	ds_read_b128 v[1:4], v10 offset:64
	ds_read_b128 v[5:8], v10
	v_add_u32_e32 v36, 1, v0
	s_waitcnt lgkmcnt(1)
	v_mul_f64 v[14:15], v[3:4], v[3:4]
	v_fma_f64 v[22:23], v[1:2], v[1:2], v[14:15]
	v_div_scale_f64 v[14:15], s[4:5], v[22:23], v[22:23], 1.0
	s_add_i32 s4, s7, -1
	v_rcp_f64_e32 v[16:17], v[14:15]
	v_fma_f64 v[18:19], -v[14:15], v[16:17], 1.0
	v_fma_f64 v[16:17], v[16:17], v[18:19], v[16:17]
	v_div_scale_f64 v[18:19], vcc, 1.0, v[22:23], 1.0
	v_fma_f64 v[20:21], -v[14:15], v[16:17], 1.0
	v_fma_f64 v[16:17], v[16:17], v[20:21], v[16:17]
	v_mul_f64 v[20:21], v[18:19], v[16:17]
	v_fma_f64 v[14:15], -v[14:15], v[20:21], v[18:19]
	v_div_fmas_f64 v[24:25], v[14:15], v[16:17], v[20:21]
	ds_read_b128 v[14:17], v11
	ds_read_b128 v[18:21], v11 offset:256
	s_waitcnt lgkmcnt(1)
	v_mul_f64 v[26:27], v[3:4], -v[14:15]
	v_mul_f64 v[3:4], v[3:4], v[16:17]
	v_fma_f64 v[16:17], v[16:17], v[1:2], v[26:27]
	v_fma_f64 v[14:15], v[14:15], v[1:2], v[3:4]
	ds_read_b128 v[1:4], v10 offset:128
	v_div_fixup_f64 v[22:23], v[24:25], v[22:23], 1.0
	v_mul_f64 v[24:25], v[22:23], v[16:17]
	v_mul_f64 v[26:27], v[22:23], v[14:15]
	ds_read_b128 v[14:17], v10 offset:256
	v_min_i32_e32 v10, s4, v36
	v_lshlrev_b32_e32 v10, 4, v10
	v_mul_f64 v[22:23], v[24:25], v[7:8]
	v_mul_f64 v[28:29], v[24:25], -v[5:6]
	s_waitcnt lgkmcnt(1)
	v_mul_f64 v[30:31], v[24:25], -v[3:4]
	v_mul_f64 v[32:33], v[24:25], v[1:2]
	s_waitcnt lgkmcnt(0)
	v_mul_f64 v[34:35], v[24:25], v[14:15]
	v_fma_f64 v[5:6], -v[5:6], v[26:27], v[22:23]
	v_fma_f64 v[7:8], -v[7:8], v[26:27], v[28:29]
	v_mul_f64 v[28:29], v[24:25], -v[16:17]
	ds_read_b128 v[22:25], v13
	v_fma_f64 v[30:31], v[1:2], v[26:27], v[30:31]
	v_fma_f64 v[32:33], v[3:4], v[26:27], v[32:33]
	ds_read_b128 v[1:4], v10 offset:64
	v_fma_f64 v[34:35], v[16:17], v[26:27], v[34:35]
	v_fma_f64 v[36:37], v[14:15], v[26:27], v[28:29]
	s_waitcnt lgkmcnt(0)
	v_mul_f64 v[38:39], v[3:4], v[24:25]
	ds_read_b128 v[14:17], v12
	ds_read_b128 v[26:29], v10
	v_add_f64 v[20:21], v[20:21], -v[34:35]
	s_waitcnt lgkmcnt(1)
	v_add_f64 v[14:15], v[14:15], -v[30:31]
	v_add_f64 v[16:17], v[16:17], -v[32:33]
	;; [unrolled: 1-line block ×3, first 2 shown]
	v_fma_f64 v[38:39], v[22:23], v[1:2], v[38:39]
	v_mul_f64 v[22:23], v[3:4], -v[22:23]
	v_mul_f64 v[3:4], v[3:4], v[3:4]
	v_fma_f64 v[22:23], v[24:25], v[1:2], v[22:23]
	v_fma_f64 v[1:2], v[1:2], v[1:2], v[3:4]
	v_div_scale_f64 v[3:4], s[4:5], v[1:2], v[1:2], 1.0
	v_rcp_f64_e32 v[24:25], v[3:4]
	v_fma_f64 v[40:41], -v[3:4], v[24:25], 1.0
	v_fma_f64 v[24:25], v[24:25], v[40:41], v[24:25]
	v_fma_f64 v[40:41], -v[3:4], v[24:25], 1.0
	v_fma_f64 v[24:25], v[24:25], v[40:41], v[24:25]
	v_div_scale_f64 v[40:41], vcc, 1.0, v[1:2], 1.0
	v_mul_f64 v[42:43], v[40:41], v[24:25]
	v_fma_f64 v[3:4], -v[3:4], v[42:43], v[40:41]
	s_nop 1
	v_div_fmas_f64 v[3:4], v[3:4], v[24:25], v[42:43]
	v_cmp_gt_u32_e32 vcc, 2, v0
	v_div_fixup_f64 v[1:2], v[3:4], v[1:2], 1.0
	v_mul_f64 v[22:23], v[1:2], v[22:23]
	v_mul_f64 v[24:25], v[1:2], v[38:39]
	s_waitcnt lgkmcnt(0)
	v_mul_f64 v[1:2], v[22:23], -v[28:29]
	v_fma_f64 v[38:39], v[26:27], v[24:25], v[1:2]
	v_mul_f64 v[1:2], v[22:23], v[26:27]
	v_add_f64 v[14:15], v[14:15], -v[38:39]
	v_fma_f64 v[26:27], v[28:29], v[24:25], v[1:2]
	ds_read_b128 v[1:4], v10 offset:256
	s_waitcnt lgkmcnt(0)
	v_mul_f64 v[28:29], v[22:23], -v[3:4]
	v_add_f64 v[16:17], v[16:17], -v[26:27]
	v_fma_f64 v[28:29], v[1:2], v[24:25], v[28:29]
	v_mul_f64 v[1:2], v[22:23], v[1:2]
	v_add_f64 v[18:19], v[18:19], -v[28:29]
	v_fma_f64 v[40:41], v[3:4], v[24:25], v[1:2]
	ds_read_b128 v[1:4], v10 offset:128
	s_waitcnt lgkmcnt(0)
	; wave barrier
	v_mul_f64 v[30:31], v[22:23], v[3:4]
	v_mul_f64 v[22:23], v[22:23], -v[1:2]
	v_add_f64 v[20:21], v[20:21], -v[40:41]
	v_fma_f64 v[1:2], -v[1:2], v[24:25], v[30:31]
	v_fma_f64 v[3:4], -v[3:4], v[24:25], v[22:23]
	ds_write_b128 v11, v[5:8]
	ds_write_b128 v13, v[1:4]
	;; [unrolled: 1-line block ×3, first 2 shown]
	ds_write_b128 v11, v[18:21] offset:256
	s_waitcnt lgkmcnt(0)
	; wave barrier
	s_and_saveexec_b64 s[4:5], vcc
	s_cbranch_execz .LBB84_14
; %bb.9:
	v_or_b32_e32 v5, 2, v0
	v_or_b32_e32 v6, 0x100, v11
	v_cmp_le_i32_e32 vcc, s7, v5
                                        ; implicit-def: $vgpr3_vgpr4
	s_and_saveexec_b64 s[6:7], vcc
	s_xor_b64 s[6:7], exec, s[6:7]
	s_cbranch_execz .LBB84_11
; %bb.10:
	ds_read_b128 v[1:4], v12
	ds_read_b128 v[5:8], v6
	s_waitcnt lgkmcnt(1)
	v_mul_f64 v[12:13], v[3:4], v[3:4]
	v_fma_f64 v[12:13], v[1:2], v[1:2], v[12:13]
	v_div_scale_f64 v[14:15], s[8:9], v[12:13], v[12:13], 1.0
	v_rcp_f64_e32 v[16:17], v[14:15]
	v_fma_f64 v[18:19], -v[14:15], v[16:17], 1.0
	v_fma_f64 v[16:17], v[16:17], v[18:19], v[16:17]
	v_div_scale_f64 v[18:19], vcc, 1.0, v[12:13], 1.0
	v_fma_f64 v[20:21], -v[14:15], v[16:17], 1.0
	v_fma_f64 v[16:17], v[16:17], v[20:21], v[16:17]
	v_mul_f64 v[20:21], v[18:19], v[16:17]
	v_fma_f64 v[14:15], -v[14:15], v[20:21], v[18:19]
	v_div_fmas_f64 v[14:15], v[14:15], v[16:17], v[20:21]
	s_waitcnt lgkmcnt(0)
	v_mul_f64 v[16:17], v[3:4], v[7:8]
	v_mul_f64 v[3:4], v[3:4], -v[5:6]
	v_fma_f64 v[5:6], v[5:6], v[1:2], v[16:17]
	v_fma_f64 v[3:4], v[7:8], v[1:2], v[3:4]
	v_div_fixup_f64 v[12:13], v[14:15], v[12:13], 1.0
	v_mul_f64 v[1:2], v[12:13], v[5:6]
	v_mul_f64 v[3:4], v[12:13], v[3:4]
                                        ; implicit-def: $vgpr12
                                        ; implicit-def: $vgpr13
                                        ; implicit-def: $vgpr6
                                        ; implicit-def: $vgpr5
.LBB84_11:
	s_andn2_saveexec_b64 s[6:7], s[6:7]
	s_cbranch_execz .LBB84_13
; %bb.12:
	ds_read_b128 v[0:3], v12 offset:32
	ds_read_b128 v[13:16], v13
	ds_read_b128 v[17:20], v12
	ds_read_b128 v[21:24], v11 offset:32
	s_waitcnt lgkmcnt(1)
	v_mul_f64 v[7:8], v[19:20], v[0:1]
	s_waitcnt lgkmcnt(0)
	v_mul_f64 v[25:26], v[23:24], v[13:14]
	v_mul_f64 v[27:28], v[19:20], -v[2:3]
	v_mul_f64 v[29:30], v[23:24], -v[15:16]
	v_fma_f64 v[7:8], v[2:3], v[17:18], v[7:8]
	v_fma_f64 v[25:26], v[15:16], v[21:22], v[25:26]
	;; [unrolled: 1-line block ×4, first 2 shown]
	v_add_f64 v[7:8], v[7:8], -v[25:26]
	v_add_f64 v[33:34], v[27:28], -v[29:30]
	v_mul_f64 v[25:26], v[7:8], v[7:8]
	v_fma_f64 v[35:36], v[33:34], v[33:34], v[25:26]
	v_div_scale_f64 v[25:26], s[8:9], v[35:36], v[35:36], 1.0
	v_rcp_f64_e32 v[27:28], v[25:26]
	v_fma_f64 v[29:30], -v[25:26], v[27:28], 1.0
	v_fma_f64 v[27:28], v[27:28], v[29:30], v[27:28]
	v_div_scale_f64 v[29:30], vcc, 1.0, v[35:36], 1.0
	v_fma_f64 v[31:32], -v[25:26], v[27:28], 1.0
	v_fma_f64 v[37:38], v[27:28], v[31:32], v[27:28]
	v_mul_f64 v[39:40], v[29:30], v[37:38]
	v_fma_f64 v[41:42], -v[25:26], v[39:40], v[29:30]
	ds_read_b128 v[25:28], v6 offset:32
	ds_read_b128 v[29:32], v6
	s_waitcnt lgkmcnt(1)
	v_mul_f64 v[43:44], v[19:20], -v[27:28]
	v_mul_f64 v[19:20], v[19:20], v[25:26]
	s_waitcnt lgkmcnt(0)
	v_mul_f64 v[45:46], v[0:1], v[31:32]
	v_div_fmas_f64 v[37:38], v[41:42], v[37:38], v[39:40]
	v_mul_f64 v[39:40], v[27:28], -v[15:16]
	v_mul_f64 v[41:42], v[13:14], v[27:28]
	v_fma_f64 v[43:44], v[25:26], v[17:18], v[43:44]
	v_fma_f64 v[17:18], v[27:28], v[17:18], v[19:20]
	v_mul_f64 v[19:20], v[31:32], -v[2:3]
	v_mul_f64 v[27:28], v[23:24], v[29:30]
	v_mul_f64 v[23:24], v[23:24], -v[31:32]
	v_fma_f64 v[12:13], v[13:14], v[25:26], v[39:40]
	v_fma_f64 v[14:15], v[15:16], v[25:26], v[41:42]
	v_fma_f64 v[2:3], v[2:3], v[29:30], v[45:46]
	v_fma_f64 v[25:26], v[33:34], 0, -v[7:8]
	v_fma_f64 v[6:7], v[7:8], 0, v[33:34]
	v_fma_f64 v[0:1], v[0:1], v[29:30], v[19:20]
	v_div_fixup_f64 v[35:36], v[37:38], v[35:36], 1.0
	v_fma_f64 v[19:20], v[31:32], v[21:22], v[27:28]
	v_fma_f64 v[21:22], v[29:30], v[21:22], v[23:24]
	v_add_f64 v[2:3], v[2:3], -v[14:15]
	v_add_f64 v[0:1], v[0:1], -v[12:13]
	v_mul_f64 v[14:15], v[25:26], v[35:36]
	v_add_f64 v[16:17], v[17:18], -v[19:20]
	v_add_f64 v[18:19], v[43:44], -v[21:22]
	v_mul_f64 v[6:7], v[6:7], v[35:36]
	v_mul_f64 v[12:13], v[14:15], -v[2:3]
	v_mul_f64 v[20:21], v[14:15], v[0:1]
	v_mul_f64 v[22:23], v[14:15], -v[16:17]
	v_mul_f64 v[24:25], v[14:15], v[18:19]
	v_fma_f64 v[12:13], v[0:1], v[6:7], v[12:13]
	v_fma_f64 v[14:15], v[2:3], v[6:7], v[20:21]
	;; [unrolled: 1-line block ×4, first 2 shown]
	v_mov_b32_e32 v0, v5
	ds_write_b128 v11, v[12:15] offset:192
.LBB84_13:
	s_or_b64 exec, exec, s[6:7]
	v_lshlrev_b32_e32 v0, 4, v0
	ds_write_b128 v0, v[1:4] offset:192
.LBB84_14:
	s_or_b64 exec, exec, s[4:5]
	s_waitcnt lgkmcnt(0)
	; wave barrier
	s_and_saveexec_b64 s[4:5], s[0:1]
	s_cbranch_execz .LBB84_16
; %bb.15:
	v_mov_b32_e32 v10, 0
	ds_read2_b64 v[0:3], v11 offset0:24 offset1:25
	v_lshlrev_b64 v[4:5], 4, v[9:10]
	v_mov_b32_e32 v6, s3
	v_add_co_u32_e32 v4, vcc, s2, v4
	v_addc_co_u32_e32 v5, vcc, v6, v5, vcc
	s_waitcnt lgkmcnt(0)
	global_store_dwordx4 v[4:5], v[0:3], off
.LBB84_16:
	s_endpgm
	.section	.rodata,"a",@progbits
	.p2align	6, 0x0
	.amdhsa_kernel _ZN9rocsparseL30gtsv_nopivot_pcr_shared_kernelILj4E21rocsparse_complex_numIdEEEviiiPKT0_S5_S5_PS3_
		.amdhsa_group_segment_fixed_size 320
		.amdhsa_private_segment_fixed_size 0
		.amdhsa_kernarg_size 48
		.amdhsa_user_sgpr_count 6
		.amdhsa_user_sgpr_private_segment_buffer 1
		.amdhsa_user_sgpr_dispatch_ptr 0
		.amdhsa_user_sgpr_queue_ptr 0
		.amdhsa_user_sgpr_kernarg_segment_ptr 1
		.amdhsa_user_sgpr_dispatch_id 0
		.amdhsa_user_sgpr_flat_scratch_init 0
		.amdhsa_user_sgpr_private_segment_size 0
		.amdhsa_uses_dynamic_stack 0
		.amdhsa_system_sgpr_private_segment_wavefront_offset 0
		.amdhsa_system_sgpr_workgroup_id_x 1
		.amdhsa_system_sgpr_workgroup_id_y 0
		.amdhsa_system_sgpr_workgroup_id_z 0
		.amdhsa_system_sgpr_workgroup_info 0
		.amdhsa_system_vgpr_workitem_id 0
		.amdhsa_next_free_vgpr 47
		.amdhsa_next_free_sgpr 12
		.amdhsa_reserve_vcc 1
		.amdhsa_reserve_flat_scratch 0
		.amdhsa_float_round_mode_32 0
		.amdhsa_float_round_mode_16_64 0
		.amdhsa_float_denorm_mode_32 3
		.amdhsa_float_denorm_mode_16_64 3
		.amdhsa_dx10_clamp 1
		.amdhsa_ieee_mode 1
		.amdhsa_fp16_overflow 0
		.amdhsa_exception_fp_ieee_invalid_op 0
		.amdhsa_exception_fp_denorm_src 0
		.amdhsa_exception_fp_ieee_div_zero 0
		.amdhsa_exception_fp_ieee_overflow 0
		.amdhsa_exception_fp_ieee_underflow 0
		.amdhsa_exception_fp_ieee_inexact 0
		.amdhsa_exception_int_div_zero 0
	.end_amdhsa_kernel
	.section	.text._ZN9rocsparseL30gtsv_nopivot_pcr_shared_kernelILj4E21rocsparse_complex_numIdEEEviiiPKT0_S5_S5_PS3_,"axG",@progbits,_ZN9rocsparseL30gtsv_nopivot_pcr_shared_kernelILj4E21rocsparse_complex_numIdEEEviiiPKT0_S5_S5_PS3_,comdat
.Lfunc_end84:
	.size	_ZN9rocsparseL30gtsv_nopivot_pcr_shared_kernelILj4E21rocsparse_complex_numIdEEEviiiPKT0_S5_S5_PS3_, .Lfunc_end84-_ZN9rocsparseL30gtsv_nopivot_pcr_shared_kernelILj4E21rocsparse_complex_numIdEEEviiiPKT0_S5_S5_PS3_
                                        ; -- End function
	.set _ZN9rocsparseL30gtsv_nopivot_pcr_shared_kernelILj4E21rocsparse_complex_numIdEEEviiiPKT0_S5_S5_PS3_.num_vgpr, 47
	.set _ZN9rocsparseL30gtsv_nopivot_pcr_shared_kernelILj4E21rocsparse_complex_numIdEEEviiiPKT0_S5_S5_PS3_.num_agpr, 0
	.set _ZN9rocsparseL30gtsv_nopivot_pcr_shared_kernelILj4E21rocsparse_complex_numIdEEEviiiPKT0_S5_S5_PS3_.numbered_sgpr, 12
	.set _ZN9rocsparseL30gtsv_nopivot_pcr_shared_kernelILj4E21rocsparse_complex_numIdEEEviiiPKT0_S5_S5_PS3_.num_named_barrier, 0
	.set _ZN9rocsparseL30gtsv_nopivot_pcr_shared_kernelILj4E21rocsparse_complex_numIdEEEviiiPKT0_S5_S5_PS3_.private_seg_size, 0
	.set _ZN9rocsparseL30gtsv_nopivot_pcr_shared_kernelILj4E21rocsparse_complex_numIdEEEviiiPKT0_S5_S5_PS3_.uses_vcc, 1
	.set _ZN9rocsparseL30gtsv_nopivot_pcr_shared_kernelILj4E21rocsparse_complex_numIdEEEviiiPKT0_S5_S5_PS3_.uses_flat_scratch, 0
	.set _ZN9rocsparseL30gtsv_nopivot_pcr_shared_kernelILj4E21rocsparse_complex_numIdEEEviiiPKT0_S5_S5_PS3_.has_dyn_sized_stack, 0
	.set _ZN9rocsparseL30gtsv_nopivot_pcr_shared_kernelILj4E21rocsparse_complex_numIdEEEviiiPKT0_S5_S5_PS3_.has_recursion, 0
	.set _ZN9rocsparseL30gtsv_nopivot_pcr_shared_kernelILj4E21rocsparse_complex_numIdEEEviiiPKT0_S5_S5_PS3_.has_indirect_call, 0
	.section	.AMDGPU.csdata,"",@progbits
; Kernel info:
; codeLenInByte = 1884
; TotalNumSgprs: 16
; NumVgprs: 47
; ScratchSize: 0
; MemoryBound: 1
; FloatMode: 240
; IeeeMode: 1
; LDSByteSize: 320 bytes/workgroup (compile time only)
; SGPRBlocks: 1
; VGPRBlocks: 11
; NumSGPRsForWavesPerEU: 16
; NumVGPRsForWavesPerEU: 47
; Occupancy: 5
; WaveLimiterHint : 0
; COMPUTE_PGM_RSRC2:SCRATCH_EN: 0
; COMPUTE_PGM_RSRC2:USER_SGPR: 6
; COMPUTE_PGM_RSRC2:TRAP_HANDLER: 0
; COMPUTE_PGM_RSRC2:TGID_X_EN: 1
; COMPUTE_PGM_RSRC2:TGID_Y_EN: 0
; COMPUTE_PGM_RSRC2:TGID_Z_EN: 0
; COMPUTE_PGM_RSRC2:TIDIG_COMP_CNT: 0
	.section	.text._ZN9rocsparseL30gtsv_nopivot_pcr_shared_kernelILj8E21rocsparse_complex_numIdEEEviiiPKT0_S5_S5_PS3_,"axG",@progbits,_ZN9rocsparseL30gtsv_nopivot_pcr_shared_kernelILj8E21rocsparse_complex_numIdEEEviiiPKT0_S5_S5_PS3_,comdat
	.globl	_ZN9rocsparseL30gtsv_nopivot_pcr_shared_kernelILj8E21rocsparse_complex_numIdEEEviiiPKT0_S5_S5_PS3_ ; -- Begin function _ZN9rocsparseL30gtsv_nopivot_pcr_shared_kernelILj8E21rocsparse_complex_numIdEEEviiiPKT0_S5_S5_PS3_
	.p2align	8
	.type	_ZN9rocsparseL30gtsv_nopivot_pcr_shared_kernelILj8E21rocsparse_complex_numIdEEEviiiPKT0_S5_S5_PS3_,@function
_ZN9rocsparseL30gtsv_nopivot_pcr_shared_kernelILj8E21rocsparse_complex_numIdEEEviiiPKT0_S5_S5_PS3_: ; @_ZN9rocsparseL30gtsv_nopivot_pcr_shared_kernelILj8E21rocsparse_complex_numIdEEEviiiPKT0_S5_S5_PS3_
; %bb.0:
	s_load_dword s7, s[4:5], 0x0
	v_mov_b32_e32 v1, 0
	v_mov_b32_e32 v5, 0
	;; [unrolled: 1-line block ×5, first 2 shown]
	s_waitcnt lgkmcnt(0)
	v_cmp_gt_i32_e64 s[0:1], s7, v0
	v_mov_b32_e32 v8, 0
	v_lshlrev_b32_e32 v11, 4, v0
	s_and_saveexec_b64 s[2:3], s[0:1]
	s_cbranch_execz .LBB85_2
; %bb.1:
	s_load_dwordx2 s[8:9], s[4:5], 0x10
	s_waitcnt lgkmcnt(0)
	global_load_dwordx4 v[5:8], v11, s[8:9]
.LBB85_2:
	s_or_b64 exec, exec, s[2:3]
	v_mov_b32_e32 v3, 0
	v_mov_b32_e32 v4, 0
	s_waitcnt vmcnt(0)
	ds_write_b128 v11, v[5:8]
	s_and_saveexec_b64 s[2:3], s[0:1]
	s_cbranch_execz .LBB85_4
; %bb.3:
	s_load_dwordx2 s[8:9], s[4:5], 0x18
	s_waitcnt lgkmcnt(0)
	global_load_dwordx4 v[1:4], v11, s[8:9]
.LBB85_4:
	s_or_b64 exec, exec, s[2:3]
	s_load_dwordx2 s[2:3], s[4:5], 0x28
	v_mov_b32_e32 v5, 0
	v_mov_b32_e32 v7, 0
	;; [unrolled: 1-line block ×6, first 2 shown]
	s_waitcnt vmcnt(0)
	ds_write_b128 v11, v[1:4] offset:128
	s_and_saveexec_b64 s[8:9], s[0:1]
	s_cbranch_execz .LBB85_6
; %bb.5:
	s_load_dwordx2 s[10:11], s[4:5], 0x20
	s_waitcnt lgkmcnt(0)
	global_load_dwordx4 v[7:10], v11, s[10:11]
.LBB85_6:
	s_or_b64 exec, exec, s[8:9]
	s_load_dword s4, s[4:5], 0x8
	s_waitcnt vmcnt(0)
	ds_write_b128 v11, v[7:10] offset:256
	v_mov_b32_e32 v7, 0
	v_or_b32_e32 v12, 0x80, v11
	v_or_b32_e32 v13, 0x100, v11
	s_waitcnt lgkmcnt(0)
	s_mul_i32 s4, s4, s6
	v_mov_b32_e32 v8, 0
	v_add_u32_e32 v9, s4, v0
	s_and_saveexec_b64 s[4:5], s[0:1]
	s_cbranch_execz .LBB85_8
; %bb.7:
	v_mov_b32_e32 v10, 0
	v_lshlrev_b64 v[1:2], 4, v[9:10]
	v_mov_b32_e32 v3, s3
	v_add_co_u32_e32 v1, vcc, s2, v1
	v_addc_co_u32_e32 v2, vcc, v3, v2, vcc
	global_load_dwordx4 v[5:8], v[1:2], off
.LBB85_8:
	s_or_b64 exec, exec, s[4:5]
	v_sub_u32_e64 v1, v0, 1 clamp
	v_lshlrev_b32_e32 v10, 4, v1
	s_waitcnt vmcnt(0)
	ds_write_b128 v11, v[5:8] offset:512
	s_waitcnt lgkmcnt(0)
	; wave barrier
	ds_read_b128 v[1:4], v10 offset:128
	ds_read_b128 v[5:8], v10
	v_add_u32_e32 v36, 1, v0
	s_waitcnt lgkmcnt(1)
	v_mul_f64 v[14:15], v[3:4], v[3:4]
	v_fma_f64 v[22:23], v[1:2], v[1:2], v[14:15]
	v_div_scale_f64 v[14:15], s[4:5], v[22:23], v[22:23], 1.0
	s_add_i32 s4, s7, -1
	v_rcp_f64_e32 v[16:17], v[14:15]
	v_fma_f64 v[18:19], -v[14:15], v[16:17], 1.0
	v_fma_f64 v[16:17], v[16:17], v[18:19], v[16:17]
	v_div_scale_f64 v[18:19], vcc, 1.0, v[22:23], 1.0
	v_fma_f64 v[20:21], -v[14:15], v[16:17], 1.0
	v_fma_f64 v[16:17], v[16:17], v[20:21], v[16:17]
	v_mul_f64 v[20:21], v[18:19], v[16:17]
	v_fma_f64 v[14:15], -v[14:15], v[20:21], v[18:19]
	v_div_fmas_f64 v[24:25], v[14:15], v[16:17], v[20:21]
	ds_read_b128 v[14:17], v11
	ds_read_b128 v[18:21], v11 offset:512
	s_waitcnt lgkmcnt(1)
	v_mul_f64 v[26:27], v[3:4], -v[14:15]
	v_mul_f64 v[3:4], v[3:4], v[16:17]
	v_fma_f64 v[16:17], v[16:17], v[1:2], v[26:27]
	v_fma_f64 v[14:15], v[14:15], v[1:2], v[3:4]
	ds_read_b128 v[1:4], v10 offset:256
	v_div_fixup_f64 v[22:23], v[24:25], v[22:23], 1.0
	v_mul_f64 v[24:25], v[22:23], v[16:17]
	v_mul_f64 v[26:27], v[22:23], v[14:15]
	ds_read_b128 v[14:17], v10 offset:512
	v_min_i32_e32 v10, s4, v36
	v_lshlrev_b32_e32 v10, 4, v10
	v_mul_f64 v[22:23], v[24:25], v[7:8]
	v_mul_f64 v[28:29], v[24:25], -v[5:6]
	s_waitcnt lgkmcnt(1)
	v_mul_f64 v[30:31], v[24:25], -v[3:4]
	v_mul_f64 v[32:33], v[24:25], v[1:2]
	s_waitcnt lgkmcnt(0)
	v_mul_f64 v[34:35], v[24:25], v[14:15]
	v_fma_f64 v[5:6], -v[5:6], v[26:27], v[22:23]
	v_fma_f64 v[7:8], -v[7:8], v[26:27], v[28:29]
	v_mul_f64 v[28:29], v[24:25], -v[16:17]
	ds_read_b128 v[22:25], v13
	v_fma_f64 v[30:31], v[1:2], v[26:27], v[30:31]
	v_fma_f64 v[32:33], v[3:4], v[26:27], v[32:33]
	ds_read_b128 v[1:4], v10 offset:128
	v_fma_f64 v[34:35], v[16:17], v[26:27], v[34:35]
	v_fma_f64 v[36:37], v[14:15], v[26:27], v[28:29]
	s_waitcnt lgkmcnt(0)
	v_mul_f64 v[38:39], v[3:4], v[24:25]
	ds_read_b128 v[14:17], v12
	ds_read_b128 v[26:29], v10
	v_add_f64 v[20:21], v[20:21], -v[34:35]
	s_waitcnt lgkmcnt(1)
	v_add_f64 v[14:15], v[14:15], -v[30:31]
	v_add_f64 v[16:17], v[16:17], -v[32:33]
	;; [unrolled: 1-line block ×3, first 2 shown]
	v_fma_f64 v[38:39], v[22:23], v[1:2], v[38:39]
	v_mul_f64 v[22:23], v[3:4], -v[22:23]
	v_mul_f64 v[3:4], v[3:4], v[3:4]
	v_add_u32_e32 v36, 2, v0
	v_fma_f64 v[22:23], v[24:25], v[1:2], v[22:23]
	v_fma_f64 v[1:2], v[1:2], v[1:2], v[3:4]
	v_div_scale_f64 v[3:4], s[8:9], v[1:2], v[1:2], 1.0
	v_rcp_f64_e32 v[24:25], v[3:4]
	v_fma_f64 v[40:41], -v[3:4], v[24:25], 1.0
	v_fma_f64 v[24:25], v[24:25], v[40:41], v[24:25]
	v_fma_f64 v[40:41], -v[3:4], v[24:25], 1.0
	v_fma_f64 v[24:25], v[24:25], v[40:41], v[24:25]
	v_div_scale_f64 v[40:41], vcc, 1.0, v[1:2], 1.0
	v_mul_f64 v[42:43], v[40:41], v[24:25]
	v_fma_f64 v[3:4], -v[3:4], v[42:43], v[40:41]
	s_nop 1
	v_div_fmas_f64 v[3:4], v[3:4], v[24:25], v[42:43]
	v_div_fixup_f64 v[1:2], v[3:4], v[1:2], 1.0
	v_mul_f64 v[22:23], v[1:2], v[22:23]
	v_mul_f64 v[24:25], v[1:2], v[38:39]
	s_waitcnt lgkmcnt(0)
	v_mul_f64 v[1:2], v[22:23], -v[28:29]
	v_fma_f64 v[38:39], v[26:27], v[24:25], v[1:2]
	v_mul_f64 v[1:2], v[22:23], v[26:27]
	v_add_f64 v[14:15], v[14:15], -v[38:39]
	v_fma_f64 v[26:27], v[28:29], v[24:25], v[1:2]
	ds_read_b128 v[1:4], v10 offset:512
	s_waitcnt lgkmcnt(0)
	v_mul_f64 v[28:29], v[22:23], -v[3:4]
	v_add_f64 v[16:17], v[16:17], -v[26:27]
	v_fma_f64 v[28:29], v[1:2], v[24:25], v[28:29]
	v_mul_f64 v[1:2], v[22:23], v[1:2]
	v_add_f64 v[18:19], v[18:19], -v[28:29]
	v_fma_f64 v[40:41], v[3:4], v[24:25], v[1:2]
	ds_read_b128 v[1:4], v10 offset:256
	v_sub_u32_e64 v10, v0, 2 clamp
	v_lshlrev_b32_e32 v10, 4, v10
	s_waitcnt lgkmcnt(0)
	; wave barrier
	v_mul_f64 v[30:31], v[22:23], v[3:4]
	v_mul_f64 v[22:23], v[22:23], -v[1:2]
	v_add_f64 v[20:21], v[20:21], -v[40:41]
	v_fma_f64 v[1:2], -v[1:2], v[24:25], v[30:31]
	v_fma_f64 v[3:4], -v[3:4], v[24:25], v[22:23]
	ds_write_b128 v11, v[5:8]
	ds_write_b128 v13, v[1:4]
	;; [unrolled: 1-line block ×3, first 2 shown]
	ds_write_b128 v11, v[18:21] offset:512
	s_waitcnt lgkmcnt(0)
	; wave barrier
	ds_read_b128 v[1:4], v10 offset:128
	ds_read_b128 v[5:8], v10
	s_waitcnt lgkmcnt(1)
	v_mul_f64 v[14:15], v[3:4], v[3:4]
	v_fma_f64 v[22:23], v[1:2], v[1:2], v[14:15]
	v_div_scale_f64 v[14:15], s[8:9], v[22:23], v[22:23], 1.0
	v_rcp_f64_e32 v[16:17], v[14:15]
	v_fma_f64 v[18:19], -v[14:15], v[16:17], 1.0
	v_fma_f64 v[16:17], v[16:17], v[18:19], v[16:17]
	v_div_scale_f64 v[18:19], vcc, 1.0, v[22:23], 1.0
	v_fma_f64 v[20:21], -v[14:15], v[16:17], 1.0
	v_fma_f64 v[16:17], v[16:17], v[20:21], v[16:17]
	v_mul_f64 v[20:21], v[18:19], v[16:17]
	v_fma_f64 v[14:15], -v[14:15], v[20:21], v[18:19]
	v_div_fmas_f64 v[24:25], v[14:15], v[16:17], v[20:21]
	ds_read_b128 v[14:17], v11
	ds_read_b128 v[18:21], v11 offset:512
	s_waitcnt lgkmcnt(1)
	v_mul_f64 v[26:27], v[3:4], -v[14:15]
	v_mul_f64 v[3:4], v[3:4], v[16:17]
	v_fma_f64 v[16:17], v[16:17], v[1:2], v[26:27]
	v_fma_f64 v[14:15], v[14:15], v[1:2], v[3:4]
	ds_read_b128 v[1:4], v10 offset:256
	v_div_fixup_f64 v[22:23], v[24:25], v[22:23], 1.0
	v_mul_f64 v[24:25], v[22:23], v[16:17]
	v_mul_f64 v[26:27], v[22:23], v[14:15]
	ds_read_b128 v[14:17], v10 offset:512
	v_min_i32_e32 v10, s4, v36
	v_lshlrev_b32_e32 v10, 4, v10
	v_mul_f64 v[22:23], v[24:25], v[7:8]
	v_mul_f64 v[28:29], v[24:25], -v[5:6]
	s_waitcnt lgkmcnt(1)
	v_mul_f64 v[30:31], v[24:25], -v[3:4]
	v_mul_f64 v[32:33], v[24:25], v[1:2]
	s_waitcnt lgkmcnt(0)
	v_mul_f64 v[34:35], v[24:25], v[14:15]
	v_fma_f64 v[5:6], -v[5:6], v[26:27], v[22:23]
	v_fma_f64 v[7:8], -v[7:8], v[26:27], v[28:29]
	v_mul_f64 v[28:29], v[24:25], -v[16:17]
	ds_read_b128 v[22:25], v10 offset:128
	v_fma_f64 v[30:31], v[1:2], v[26:27], v[30:31]
	v_fma_f64 v[32:33], v[3:4], v[26:27], v[32:33]
	ds_read_b128 v[1:4], v13
	v_fma_f64 v[34:35], v[16:17], v[26:27], v[34:35]
	v_fma_f64 v[36:37], v[14:15], v[26:27], v[28:29]
	s_waitcnt lgkmcnt(0)
	v_mul_f64 v[38:39], v[24:25], v[3:4]
	ds_read_b128 v[14:17], v10
	ds_read_b128 v[26:29], v12
	v_add_f64 v[20:21], v[20:21], -v[34:35]
	v_add_f64 v[18:19], v[18:19], -v[36:37]
	v_fma_f64 v[38:39], v[1:2], v[22:23], v[38:39]
	v_mul_f64 v[1:2], v[24:25], -v[1:2]
	v_fma_f64 v[1:2], v[3:4], v[22:23], v[1:2]
	v_mul_f64 v[3:4], v[24:25], v[24:25]
	v_fma_f64 v[3:4], v[22:23], v[22:23], v[3:4]
	v_div_scale_f64 v[22:23], s[4:5], v[3:4], v[3:4], 1.0
	v_rcp_f64_e32 v[24:25], v[22:23]
	v_fma_f64 v[40:41], -v[22:23], v[24:25], 1.0
	v_fma_f64 v[24:25], v[24:25], v[40:41], v[24:25]
	v_fma_f64 v[40:41], -v[22:23], v[24:25], 1.0
	v_fma_f64 v[24:25], v[24:25], v[40:41], v[24:25]
	v_div_scale_f64 v[40:41], vcc, 1.0, v[3:4], 1.0
	v_mul_f64 v[42:43], v[40:41], v[24:25]
	v_fma_f64 v[22:23], -v[22:23], v[42:43], v[40:41]
	s_nop 1
	v_div_fmas_f64 v[22:23], v[22:23], v[24:25], v[42:43]
	v_cmp_gt_u32_e32 vcc, 4, v0
	v_div_fixup_f64 v[3:4], v[22:23], v[3:4], 1.0
	v_mul_f64 v[22:23], v[3:4], v[1:2]
	v_mul_f64 v[24:25], v[3:4], v[38:39]
	s_waitcnt lgkmcnt(1)
	v_mul_f64 v[1:2], v[22:23], -v[16:17]
	v_fma_f64 v[38:39], v[14:15], v[24:25], v[1:2]
	v_mul_f64 v[1:2], v[22:23], v[14:15]
	v_fma_f64 v[16:17], v[16:17], v[24:25], v[1:2]
	ds_read_b128 v[1:4], v10 offset:512
	s_waitcnt lgkmcnt(0)
	v_mul_f64 v[14:15], v[22:23], -v[3:4]
	v_fma_f64 v[40:41], v[1:2], v[24:25], v[14:15]
	v_mul_f64 v[1:2], v[22:23], v[1:2]
	v_add_f64 v[14:15], v[26:27], -v[30:31]
	v_add_f64 v[26:27], v[28:29], -v[32:33]
	;; [unrolled: 1-line block ×3, first 2 shown]
	v_fma_f64 v[42:43], v[3:4], v[24:25], v[1:2]
	ds_read_b128 v[1:4], v10 offset:256
	v_add_f64 v[14:15], v[14:15], -v[38:39]
	v_add_f64 v[16:17], v[26:27], -v[16:17]
	s_waitcnt lgkmcnt(0)
	; wave barrier
	v_mul_f64 v[28:29], v[22:23], v[3:4]
	v_mul_f64 v[22:23], v[22:23], -v[1:2]
	v_add_f64 v[20:21], v[20:21], -v[42:43]
	v_fma_f64 v[1:2], -v[1:2], v[24:25], v[28:29]
	v_fma_f64 v[3:4], -v[3:4], v[24:25], v[22:23]
	ds_write_b128 v11, v[5:8]
	ds_write_b128 v13, v[1:4]
	;; [unrolled: 1-line block ×3, first 2 shown]
	ds_write_b128 v11, v[18:21] offset:512
	s_waitcnt lgkmcnt(0)
	; wave barrier
	s_and_saveexec_b64 s[4:5], vcc
	s_cbranch_execz .LBB85_14
; %bb.9:
	v_or_b32_e32 v5, 4, v0
	v_or_b32_e32 v6, 0x200, v11
	v_cmp_le_i32_e32 vcc, s7, v5
                                        ; implicit-def: $vgpr3_vgpr4
	s_and_saveexec_b64 s[6:7], vcc
	s_xor_b64 s[6:7], exec, s[6:7]
	s_cbranch_execz .LBB85_11
; %bb.10:
	ds_read_b128 v[1:4], v12
	ds_read_b128 v[5:8], v6
	s_waitcnt lgkmcnt(1)
	v_mul_f64 v[12:13], v[3:4], v[3:4]
	v_fma_f64 v[12:13], v[1:2], v[1:2], v[12:13]
	v_div_scale_f64 v[14:15], s[8:9], v[12:13], v[12:13], 1.0
	v_rcp_f64_e32 v[16:17], v[14:15]
	v_fma_f64 v[18:19], -v[14:15], v[16:17], 1.0
	v_fma_f64 v[16:17], v[16:17], v[18:19], v[16:17]
	v_div_scale_f64 v[18:19], vcc, 1.0, v[12:13], 1.0
	v_fma_f64 v[20:21], -v[14:15], v[16:17], 1.0
	v_fma_f64 v[16:17], v[16:17], v[20:21], v[16:17]
	v_mul_f64 v[20:21], v[18:19], v[16:17]
	v_fma_f64 v[14:15], -v[14:15], v[20:21], v[18:19]
	v_div_fmas_f64 v[14:15], v[14:15], v[16:17], v[20:21]
	s_waitcnt lgkmcnt(0)
	v_mul_f64 v[16:17], v[3:4], v[7:8]
	v_mul_f64 v[3:4], v[3:4], -v[5:6]
	v_fma_f64 v[5:6], v[5:6], v[1:2], v[16:17]
	v_fma_f64 v[3:4], v[7:8], v[1:2], v[3:4]
	v_div_fixup_f64 v[12:13], v[14:15], v[12:13], 1.0
	v_mul_f64 v[1:2], v[12:13], v[5:6]
	v_mul_f64 v[3:4], v[12:13], v[3:4]
                                        ; implicit-def: $vgpr12
                                        ; implicit-def: $vgpr13
                                        ; implicit-def: $vgpr6
                                        ; implicit-def: $vgpr5
.LBB85_11:
	s_andn2_saveexec_b64 s[6:7], s[6:7]
	s_cbranch_execz .LBB85_13
; %bb.12:
	ds_read_b128 v[0:3], v12 offset:64
	ds_read_b128 v[13:16], v13
	ds_read_b128 v[17:20], v12
	ds_read_b128 v[21:24], v11 offset:64
	s_waitcnt lgkmcnt(1)
	v_mul_f64 v[7:8], v[19:20], v[0:1]
	s_waitcnt lgkmcnt(0)
	v_mul_f64 v[25:26], v[23:24], v[13:14]
	v_mul_f64 v[27:28], v[19:20], -v[2:3]
	v_mul_f64 v[29:30], v[23:24], -v[15:16]
	v_fma_f64 v[7:8], v[2:3], v[17:18], v[7:8]
	v_fma_f64 v[25:26], v[15:16], v[21:22], v[25:26]
	;; [unrolled: 1-line block ×4, first 2 shown]
	v_add_f64 v[7:8], v[7:8], -v[25:26]
	v_add_f64 v[33:34], v[27:28], -v[29:30]
	v_mul_f64 v[25:26], v[7:8], v[7:8]
	v_fma_f64 v[35:36], v[33:34], v[33:34], v[25:26]
	v_div_scale_f64 v[25:26], s[8:9], v[35:36], v[35:36], 1.0
	v_rcp_f64_e32 v[27:28], v[25:26]
	v_fma_f64 v[29:30], -v[25:26], v[27:28], 1.0
	v_fma_f64 v[27:28], v[27:28], v[29:30], v[27:28]
	v_div_scale_f64 v[29:30], vcc, 1.0, v[35:36], 1.0
	v_fma_f64 v[31:32], -v[25:26], v[27:28], 1.0
	v_fma_f64 v[37:38], v[27:28], v[31:32], v[27:28]
	v_mul_f64 v[39:40], v[29:30], v[37:38]
	v_fma_f64 v[41:42], -v[25:26], v[39:40], v[29:30]
	ds_read_b128 v[25:28], v6 offset:64
	ds_read_b128 v[29:32], v6
	s_waitcnt lgkmcnt(1)
	v_mul_f64 v[43:44], v[19:20], -v[27:28]
	v_mul_f64 v[19:20], v[19:20], v[25:26]
	s_waitcnt lgkmcnt(0)
	v_mul_f64 v[45:46], v[0:1], v[31:32]
	v_div_fmas_f64 v[37:38], v[41:42], v[37:38], v[39:40]
	v_mul_f64 v[39:40], v[27:28], -v[15:16]
	v_mul_f64 v[41:42], v[13:14], v[27:28]
	v_fma_f64 v[43:44], v[25:26], v[17:18], v[43:44]
	v_fma_f64 v[17:18], v[27:28], v[17:18], v[19:20]
	v_mul_f64 v[19:20], v[31:32], -v[2:3]
	v_mul_f64 v[27:28], v[23:24], v[29:30]
	v_mul_f64 v[23:24], v[23:24], -v[31:32]
	v_fma_f64 v[12:13], v[13:14], v[25:26], v[39:40]
	v_fma_f64 v[14:15], v[15:16], v[25:26], v[41:42]
	;; [unrolled: 1-line block ×3, first 2 shown]
	v_fma_f64 v[25:26], v[33:34], 0, -v[7:8]
	v_fma_f64 v[6:7], v[7:8], 0, v[33:34]
	v_fma_f64 v[0:1], v[0:1], v[29:30], v[19:20]
	v_div_fixup_f64 v[35:36], v[37:38], v[35:36], 1.0
	v_fma_f64 v[19:20], v[31:32], v[21:22], v[27:28]
	v_fma_f64 v[21:22], v[29:30], v[21:22], v[23:24]
	v_add_f64 v[2:3], v[2:3], -v[14:15]
	v_add_f64 v[0:1], v[0:1], -v[12:13]
	v_mul_f64 v[14:15], v[25:26], v[35:36]
	v_add_f64 v[16:17], v[17:18], -v[19:20]
	v_add_f64 v[18:19], v[43:44], -v[21:22]
	v_mul_f64 v[6:7], v[6:7], v[35:36]
	v_mul_f64 v[12:13], v[14:15], -v[2:3]
	v_mul_f64 v[20:21], v[14:15], v[0:1]
	v_mul_f64 v[22:23], v[14:15], -v[16:17]
	v_mul_f64 v[24:25], v[14:15], v[18:19]
	v_fma_f64 v[12:13], v[0:1], v[6:7], v[12:13]
	v_fma_f64 v[14:15], v[2:3], v[6:7], v[20:21]
	;; [unrolled: 1-line block ×4, first 2 shown]
	v_mov_b32_e32 v0, v5
	ds_write_b128 v11, v[12:15] offset:384
.LBB85_13:
	s_or_b64 exec, exec, s[6:7]
	v_lshlrev_b32_e32 v0, 4, v0
	ds_write_b128 v0, v[1:4] offset:384
.LBB85_14:
	s_or_b64 exec, exec, s[4:5]
	s_waitcnt lgkmcnt(0)
	; wave barrier
	s_and_saveexec_b64 s[4:5], s[0:1]
	s_cbranch_execz .LBB85_16
; %bb.15:
	v_mov_b32_e32 v10, 0
	ds_read2_b64 v[0:3], v11 offset0:48 offset1:49
	v_lshlrev_b64 v[4:5], 4, v[9:10]
	v_mov_b32_e32 v6, s3
	v_add_co_u32_e32 v4, vcc, s2, v4
	v_addc_co_u32_e32 v5, vcc, v6, v5, vcc
	s_waitcnt lgkmcnt(0)
	global_store_dwordx4 v[4:5], v[0:3], off
.LBB85_16:
	s_endpgm
	.section	.rodata,"a",@progbits
	.p2align	6, 0x0
	.amdhsa_kernel _ZN9rocsparseL30gtsv_nopivot_pcr_shared_kernelILj8E21rocsparse_complex_numIdEEEviiiPKT0_S5_S5_PS3_
		.amdhsa_group_segment_fixed_size 640
		.amdhsa_private_segment_fixed_size 0
		.amdhsa_kernarg_size 48
		.amdhsa_user_sgpr_count 6
		.amdhsa_user_sgpr_private_segment_buffer 1
		.amdhsa_user_sgpr_dispatch_ptr 0
		.amdhsa_user_sgpr_queue_ptr 0
		.amdhsa_user_sgpr_kernarg_segment_ptr 1
		.amdhsa_user_sgpr_dispatch_id 0
		.amdhsa_user_sgpr_flat_scratch_init 0
		.amdhsa_user_sgpr_private_segment_size 0
		.amdhsa_uses_dynamic_stack 0
		.amdhsa_system_sgpr_private_segment_wavefront_offset 0
		.amdhsa_system_sgpr_workgroup_id_x 1
		.amdhsa_system_sgpr_workgroup_id_y 0
		.amdhsa_system_sgpr_workgroup_id_z 0
		.amdhsa_system_sgpr_workgroup_info 0
		.amdhsa_system_vgpr_workitem_id 0
		.amdhsa_next_free_vgpr 47
		.amdhsa_next_free_sgpr 12
		.amdhsa_reserve_vcc 1
		.amdhsa_reserve_flat_scratch 0
		.amdhsa_float_round_mode_32 0
		.amdhsa_float_round_mode_16_64 0
		.amdhsa_float_denorm_mode_32 3
		.amdhsa_float_denorm_mode_16_64 3
		.amdhsa_dx10_clamp 1
		.amdhsa_ieee_mode 1
		.amdhsa_fp16_overflow 0
		.amdhsa_exception_fp_ieee_invalid_op 0
		.amdhsa_exception_fp_denorm_src 0
		.amdhsa_exception_fp_ieee_div_zero 0
		.amdhsa_exception_fp_ieee_overflow 0
		.amdhsa_exception_fp_ieee_underflow 0
		.amdhsa_exception_fp_ieee_inexact 0
		.amdhsa_exception_int_div_zero 0
	.end_amdhsa_kernel
	.section	.text._ZN9rocsparseL30gtsv_nopivot_pcr_shared_kernelILj8E21rocsparse_complex_numIdEEEviiiPKT0_S5_S5_PS3_,"axG",@progbits,_ZN9rocsparseL30gtsv_nopivot_pcr_shared_kernelILj8E21rocsparse_complex_numIdEEEviiiPKT0_S5_S5_PS3_,comdat
.Lfunc_end85:
	.size	_ZN9rocsparseL30gtsv_nopivot_pcr_shared_kernelILj8E21rocsparse_complex_numIdEEEviiiPKT0_S5_S5_PS3_, .Lfunc_end85-_ZN9rocsparseL30gtsv_nopivot_pcr_shared_kernelILj8E21rocsparse_complex_numIdEEEviiiPKT0_S5_S5_PS3_
                                        ; -- End function
	.set _ZN9rocsparseL30gtsv_nopivot_pcr_shared_kernelILj8E21rocsparse_complex_numIdEEEviiiPKT0_S5_S5_PS3_.num_vgpr, 47
	.set _ZN9rocsparseL30gtsv_nopivot_pcr_shared_kernelILj8E21rocsparse_complex_numIdEEEviiiPKT0_S5_S5_PS3_.num_agpr, 0
	.set _ZN9rocsparseL30gtsv_nopivot_pcr_shared_kernelILj8E21rocsparse_complex_numIdEEEviiiPKT0_S5_S5_PS3_.numbered_sgpr, 12
	.set _ZN9rocsparseL30gtsv_nopivot_pcr_shared_kernelILj8E21rocsparse_complex_numIdEEEviiiPKT0_S5_S5_PS3_.num_named_barrier, 0
	.set _ZN9rocsparseL30gtsv_nopivot_pcr_shared_kernelILj8E21rocsparse_complex_numIdEEEviiiPKT0_S5_S5_PS3_.private_seg_size, 0
	.set _ZN9rocsparseL30gtsv_nopivot_pcr_shared_kernelILj8E21rocsparse_complex_numIdEEEviiiPKT0_S5_S5_PS3_.uses_vcc, 1
	.set _ZN9rocsparseL30gtsv_nopivot_pcr_shared_kernelILj8E21rocsparse_complex_numIdEEEviiiPKT0_S5_S5_PS3_.uses_flat_scratch, 0
	.set _ZN9rocsparseL30gtsv_nopivot_pcr_shared_kernelILj8E21rocsparse_complex_numIdEEEviiiPKT0_S5_S5_PS3_.has_dyn_sized_stack, 0
	.set _ZN9rocsparseL30gtsv_nopivot_pcr_shared_kernelILj8E21rocsparse_complex_numIdEEEviiiPKT0_S5_S5_PS3_.has_recursion, 0
	.set _ZN9rocsparseL30gtsv_nopivot_pcr_shared_kernelILj8E21rocsparse_complex_numIdEEEviiiPKT0_S5_S5_PS3_.has_indirect_call, 0
	.section	.AMDGPU.csdata,"",@progbits
; Kernel info:
; codeLenInByte = 2632
; TotalNumSgprs: 16
; NumVgprs: 47
; ScratchSize: 0
; MemoryBound: 1
; FloatMode: 240
; IeeeMode: 1
; LDSByteSize: 640 bytes/workgroup (compile time only)
; SGPRBlocks: 1
; VGPRBlocks: 11
; NumSGPRsForWavesPerEU: 16
; NumVGPRsForWavesPerEU: 47
; Occupancy: 5
; WaveLimiterHint : 0
; COMPUTE_PGM_RSRC2:SCRATCH_EN: 0
; COMPUTE_PGM_RSRC2:USER_SGPR: 6
; COMPUTE_PGM_RSRC2:TRAP_HANDLER: 0
; COMPUTE_PGM_RSRC2:TGID_X_EN: 1
; COMPUTE_PGM_RSRC2:TGID_Y_EN: 0
; COMPUTE_PGM_RSRC2:TGID_Z_EN: 0
; COMPUTE_PGM_RSRC2:TIDIG_COMP_CNT: 0
	.section	.text._ZN9rocsparseL30gtsv_nopivot_pcr_shared_kernelILj16E21rocsparse_complex_numIdEEEviiiPKT0_S5_S5_PS3_,"axG",@progbits,_ZN9rocsparseL30gtsv_nopivot_pcr_shared_kernelILj16E21rocsparse_complex_numIdEEEviiiPKT0_S5_S5_PS3_,comdat
	.globl	_ZN9rocsparseL30gtsv_nopivot_pcr_shared_kernelILj16E21rocsparse_complex_numIdEEEviiiPKT0_S5_S5_PS3_ ; -- Begin function _ZN9rocsparseL30gtsv_nopivot_pcr_shared_kernelILj16E21rocsparse_complex_numIdEEEviiiPKT0_S5_S5_PS3_
	.p2align	8
	.type	_ZN9rocsparseL30gtsv_nopivot_pcr_shared_kernelILj16E21rocsparse_complex_numIdEEEviiiPKT0_S5_S5_PS3_,@function
_ZN9rocsparseL30gtsv_nopivot_pcr_shared_kernelILj16E21rocsparse_complex_numIdEEEviiiPKT0_S5_S5_PS3_: ; @_ZN9rocsparseL30gtsv_nopivot_pcr_shared_kernelILj16E21rocsparse_complex_numIdEEEviiiPKT0_S5_S5_PS3_
; %bb.0:
	s_load_dword s7, s[4:5], 0x0
	v_mov_b32_e32 v1, 0
	v_mov_b32_e32 v5, 0
	;; [unrolled: 1-line block ×5, first 2 shown]
	s_waitcnt lgkmcnt(0)
	v_cmp_gt_i32_e64 s[0:1], s7, v0
	v_mov_b32_e32 v8, 0
	v_lshlrev_b32_e32 v11, 4, v0
	s_and_saveexec_b64 s[2:3], s[0:1]
	s_cbranch_execz .LBB86_2
; %bb.1:
	s_load_dwordx2 s[8:9], s[4:5], 0x10
	s_waitcnt lgkmcnt(0)
	global_load_dwordx4 v[5:8], v11, s[8:9]
.LBB86_2:
	s_or_b64 exec, exec, s[2:3]
	v_mov_b32_e32 v3, 0
	v_mov_b32_e32 v4, 0
	s_waitcnt vmcnt(0)
	ds_write_b128 v11, v[5:8]
	s_and_saveexec_b64 s[2:3], s[0:1]
	s_cbranch_execz .LBB86_4
; %bb.3:
	s_load_dwordx2 s[8:9], s[4:5], 0x18
	s_waitcnt lgkmcnt(0)
	global_load_dwordx4 v[1:4], v11, s[8:9]
.LBB86_4:
	s_or_b64 exec, exec, s[2:3]
	s_load_dwordx2 s[2:3], s[4:5], 0x28
	v_mov_b32_e32 v5, 0
	v_mov_b32_e32 v7, 0
	;; [unrolled: 1-line block ×6, first 2 shown]
	s_waitcnt vmcnt(0)
	ds_write_b128 v11, v[1:4] offset:256
	s_and_saveexec_b64 s[8:9], s[0:1]
	s_cbranch_execz .LBB86_6
; %bb.5:
	s_load_dwordx2 s[10:11], s[4:5], 0x20
	s_waitcnt lgkmcnt(0)
	global_load_dwordx4 v[7:10], v11, s[10:11]
.LBB86_6:
	s_or_b64 exec, exec, s[8:9]
	s_load_dword s4, s[4:5], 0x8
	s_waitcnt vmcnt(0)
	ds_write_b128 v11, v[7:10] offset:512
	v_mov_b32_e32 v7, 0
	v_or_b32_e32 v12, 0x100, v11
	v_or_b32_e32 v13, 0x200, v11
	s_waitcnt lgkmcnt(0)
	s_mul_i32 s4, s4, s6
	v_mov_b32_e32 v8, 0
	v_add_u32_e32 v9, s4, v0
	s_and_saveexec_b64 s[4:5], s[0:1]
	s_cbranch_execz .LBB86_8
; %bb.7:
	v_mov_b32_e32 v10, 0
	v_lshlrev_b64 v[1:2], 4, v[9:10]
	v_mov_b32_e32 v3, s3
	v_add_co_u32_e32 v1, vcc, s2, v1
	v_addc_co_u32_e32 v2, vcc, v3, v2, vcc
	global_load_dwordx4 v[5:8], v[1:2], off
.LBB86_8:
	s_or_b64 exec, exec, s[4:5]
	v_sub_u32_e64 v1, v0, 1 clamp
	v_lshlrev_b32_e32 v10, 4, v1
	s_waitcnt vmcnt(0)
	ds_write_b128 v11, v[5:8] offset:1024
	s_waitcnt lgkmcnt(0)
	; wave barrier
	ds_read_b128 v[1:4], v10 offset:256
	ds_read_b128 v[5:8], v10
	v_add_u32_e32 v36, 1, v0
	s_waitcnt lgkmcnt(1)
	v_mul_f64 v[14:15], v[3:4], v[3:4]
	v_fma_f64 v[22:23], v[1:2], v[1:2], v[14:15]
	v_div_scale_f64 v[14:15], s[4:5], v[22:23], v[22:23], 1.0
	s_add_i32 s4, s7, -1
	v_rcp_f64_e32 v[16:17], v[14:15]
	v_fma_f64 v[18:19], -v[14:15], v[16:17], 1.0
	v_fma_f64 v[16:17], v[16:17], v[18:19], v[16:17]
	v_div_scale_f64 v[18:19], vcc, 1.0, v[22:23], 1.0
	v_fma_f64 v[20:21], -v[14:15], v[16:17], 1.0
	v_fma_f64 v[16:17], v[16:17], v[20:21], v[16:17]
	v_mul_f64 v[20:21], v[18:19], v[16:17]
	v_fma_f64 v[14:15], -v[14:15], v[20:21], v[18:19]
	v_div_fmas_f64 v[24:25], v[14:15], v[16:17], v[20:21]
	ds_read_b128 v[14:17], v11
	ds_read_b128 v[18:21], v11 offset:1024
	s_waitcnt lgkmcnt(1)
	v_mul_f64 v[26:27], v[3:4], -v[14:15]
	v_mul_f64 v[3:4], v[3:4], v[16:17]
	v_fma_f64 v[16:17], v[16:17], v[1:2], v[26:27]
	v_fma_f64 v[14:15], v[14:15], v[1:2], v[3:4]
	ds_read_b128 v[1:4], v10 offset:512
	v_div_fixup_f64 v[22:23], v[24:25], v[22:23], 1.0
	v_mul_f64 v[24:25], v[22:23], v[16:17]
	v_mul_f64 v[26:27], v[22:23], v[14:15]
	ds_read_b128 v[14:17], v10 offset:1024
	v_min_i32_e32 v10, s4, v36
	v_lshlrev_b32_e32 v10, 4, v10
	v_mul_f64 v[22:23], v[24:25], v[7:8]
	v_mul_f64 v[28:29], v[24:25], -v[5:6]
	s_waitcnt lgkmcnt(1)
	v_mul_f64 v[30:31], v[24:25], -v[3:4]
	v_mul_f64 v[32:33], v[24:25], v[1:2]
	s_waitcnt lgkmcnt(0)
	v_mul_f64 v[34:35], v[24:25], v[14:15]
	v_fma_f64 v[5:6], -v[5:6], v[26:27], v[22:23]
	v_fma_f64 v[7:8], -v[7:8], v[26:27], v[28:29]
	v_mul_f64 v[28:29], v[24:25], -v[16:17]
	ds_read_b128 v[22:25], v13
	v_fma_f64 v[30:31], v[1:2], v[26:27], v[30:31]
	v_fma_f64 v[32:33], v[3:4], v[26:27], v[32:33]
	ds_read_b128 v[1:4], v10 offset:256
	v_fma_f64 v[34:35], v[16:17], v[26:27], v[34:35]
	v_fma_f64 v[36:37], v[14:15], v[26:27], v[28:29]
	s_waitcnt lgkmcnt(0)
	v_mul_f64 v[38:39], v[3:4], v[24:25]
	ds_read_b128 v[14:17], v12
	ds_read_b128 v[26:29], v10
	v_add_f64 v[20:21], v[20:21], -v[34:35]
	s_waitcnt lgkmcnt(1)
	v_add_f64 v[14:15], v[14:15], -v[30:31]
	v_add_f64 v[16:17], v[16:17], -v[32:33]
	v_add_f64 v[18:19], v[18:19], -v[36:37]
	v_fma_f64 v[38:39], v[22:23], v[1:2], v[38:39]
	v_mul_f64 v[22:23], v[3:4], -v[22:23]
	v_mul_f64 v[3:4], v[3:4], v[3:4]
	v_add_u32_e32 v36, 2, v0
	v_fma_f64 v[22:23], v[24:25], v[1:2], v[22:23]
	v_fma_f64 v[1:2], v[1:2], v[1:2], v[3:4]
	v_div_scale_f64 v[3:4], s[8:9], v[1:2], v[1:2], 1.0
	v_rcp_f64_e32 v[24:25], v[3:4]
	v_fma_f64 v[40:41], -v[3:4], v[24:25], 1.0
	v_fma_f64 v[24:25], v[24:25], v[40:41], v[24:25]
	v_fma_f64 v[40:41], -v[3:4], v[24:25], 1.0
	v_fma_f64 v[24:25], v[24:25], v[40:41], v[24:25]
	v_div_scale_f64 v[40:41], vcc, 1.0, v[1:2], 1.0
	v_mul_f64 v[42:43], v[40:41], v[24:25]
	v_fma_f64 v[3:4], -v[3:4], v[42:43], v[40:41]
	s_nop 1
	v_div_fmas_f64 v[3:4], v[3:4], v[24:25], v[42:43]
	v_div_fixup_f64 v[1:2], v[3:4], v[1:2], 1.0
	v_mul_f64 v[22:23], v[1:2], v[22:23]
	v_mul_f64 v[24:25], v[1:2], v[38:39]
	s_waitcnt lgkmcnt(0)
	v_mul_f64 v[1:2], v[22:23], -v[28:29]
	v_fma_f64 v[38:39], v[26:27], v[24:25], v[1:2]
	v_mul_f64 v[1:2], v[22:23], v[26:27]
	v_add_f64 v[14:15], v[14:15], -v[38:39]
	v_fma_f64 v[26:27], v[28:29], v[24:25], v[1:2]
	ds_read_b128 v[1:4], v10 offset:1024
	s_waitcnt lgkmcnt(0)
	v_mul_f64 v[28:29], v[22:23], -v[3:4]
	v_add_f64 v[16:17], v[16:17], -v[26:27]
	v_fma_f64 v[28:29], v[1:2], v[24:25], v[28:29]
	v_mul_f64 v[1:2], v[22:23], v[1:2]
	v_add_f64 v[18:19], v[18:19], -v[28:29]
	v_fma_f64 v[40:41], v[3:4], v[24:25], v[1:2]
	ds_read_b128 v[1:4], v10 offset:512
	v_sub_u32_e64 v10, v0, 2 clamp
	v_lshlrev_b32_e32 v10, 4, v10
	s_waitcnt lgkmcnt(0)
	; wave barrier
	v_mul_f64 v[30:31], v[22:23], v[3:4]
	v_mul_f64 v[22:23], v[22:23], -v[1:2]
	v_add_f64 v[20:21], v[20:21], -v[40:41]
	v_fma_f64 v[1:2], -v[1:2], v[24:25], v[30:31]
	v_fma_f64 v[3:4], -v[3:4], v[24:25], v[22:23]
	ds_write_b128 v11, v[5:8]
	ds_write_b128 v13, v[1:4]
	;; [unrolled: 1-line block ×3, first 2 shown]
	ds_write_b128 v11, v[18:21] offset:1024
	s_waitcnt lgkmcnt(0)
	; wave barrier
	ds_read_b128 v[1:4], v10 offset:256
	ds_read_b128 v[5:8], v10
	s_waitcnt lgkmcnt(1)
	v_mul_f64 v[14:15], v[3:4], v[3:4]
	v_fma_f64 v[22:23], v[1:2], v[1:2], v[14:15]
	v_div_scale_f64 v[14:15], s[8:9], v[22:23], v[22:23], 1.0
	v_rcp_f64_e32 v[16:17], v[14:15]
	v_fma_f64 v[18:19], -v[14:15], v[16:17], 1.0
	v_fma_f64 v[16:17], v[16:17], v[18:19], v[16:17]
	v_div_scale_f64 v[18:19], vcc, 1.0, v[22:23], 1.0
	v_fma_f64 v[20:21], -v[14:15], v[16:17], 1.0
	v_fma_f64 v[16:17], v[16:17], v[20:21], v[16:17]
	v_mul_f64 v[20:21], v[18:19], v[16:17]
	v_fma_f64 v[14:15], -v[14:15], v[20:21], v[18:19]
	v_div_fmas_f64 v[24:25], v[14:15], v[16:17], v[20:21]
	ds_read_b128 v[14:17], v11
	ds_read_b128 v[18:21], v11 offset:1024
	s_waitcnt lgkmcnt(1)
	v_mul_f64 v[26:27], v[3:4], -v[14:15]
	v_mul_f64 v[3:4], v[3:4], v[16:17]
	v_fma_f64 v[16:17], v[16:17], v[1:2], v[26:27]
	v_fma_f64 v[14:15], v[14:15], v[1:2], v[3:4]
	ds_read_b128 v[1:4], v10 offset:512
	v_div_fixup_f64 v[22:23], v[24:25], v[22:23], 1.0
	v_mul_f64 v[24:25], v[22:23], v[16:17]
	v_mul_f64 v[26:27], v[22:23], v[14:15]
	ds_read_b128 v[14:17], v10 offset:1024
	v_min_i32_e32 v10, s4, v36
	v_lshlrev_b32_e32 v10, 4, v10
	v_mul_f64 v[22:23], v[24:25], v[7:8]
	v_mul_f64 v[28:29], v[24:25], -v[5:6]
	s_waitcnt lgkmcnt(1)
	v_mul_f64 v[30:31], v[24:25], -v[3:4]
	v_mul_f64 v[32:33], v[24:25], v[1:2]
	s_waitcnt lgkmcnt(0)
	v_mul_f64 v[34:35], v[24:25], v[14:15]
	v_fma_f64 v[5:6], -v[5:6], v[26:27], v[22:23]
	v_fma_f64 v[7:8], -v[7:8], v[26:27], v[28:29]
	v_mul_f64 v[28:29], v[24:25], -v[16:17]
	ds_read_b128 v[22:25], v10 offset:256
	v_fma_f64 v[30:31], v[1:2], v[26:27], v[30:31]
	v_fma_f64 v[32:33], v[3:4], v[26:27], v[32:33]
	ds_read_b128 v[1:4], v13
	v_fma_f64 v[34:35], v[16:17], v[26:27], v[34:35]
	v_fma_f64 v[36:37], v[14:15], v[26:27], v[28:29]
	s_waitcnt lgkmcnt(0)
	v_mul_f64 v[38:39], v[24:25], v[3:4]
	ds_read_b128 v[14:17], v10
	ds_read_b128 v[26:29], v12
	v_add_f64 v[20:21], v[20:21], -v[34:35]
	v_add_f64 v[18:19], v[18:19], -v[36:37]
	v_fma_f64 v[38:39], v[1:2], v[22:23], v[38:39]
	v_mul_f64 v[1:2], v[24:25], -v[1:2]
	v_add_u32_e32 v36, 4, v0
	v_fma_f64 v[1:2], v[3:4], v[22:23], v[1:2]
	v_mul_f64 v[3:4], v[24:25], v[24:25]
	v_fma_f64 v[3:4], v[22:23], v[22:23], v[3:4]
	v_div_scale_f64 v[22:23], s[8:9], v[3:4], v[3:4], 1.0
	v_rcp_f64_e32 v[24:25], v[22:23]
	v_fma_f64 v[40:41], -v[22:23], v[24:25], 1.0
	v_fma_f64 v[24:25], v[24:25], v[40:41], v[24:25]
	v_fma_f64 v[40:41], -v[22:23], v[24:25], 1.0
	v_fma_f64 v[24:25], v[24:25], v[40:41], v[24:25]
	v_div_scale_f64 v[40:41], vcc, 1.0, v[3:4], 1.0
	v_mul_f64 v[42:43], v[40:41], v[24:25]
	v_fma_f64 v[22:23], -v[22:23], v[42:43], v[40:41]
	s_nop 1
	v_div_fmas_f64 v[22:23], v[22:23], v[24:25], v[42:43]
	v_div_fixup_f64 v[3:4], v[22:23], v[3:4], 1.0
	v_mul_f64 v[22:23], v[3:4], v[1:2]
	v_mul_f64 v[24:25], v[3:4], v[38:39]
	s_waitcnt lgkmcnt(1)
	v_mul_f64 v[1:2], v[22:23], -v[16:17]
	v_fma_f64 v[38:39], v[14:15], v[24:25], v[1:2]
	v_mul_f64 v[1:2], v[22:23], v[14:15]
	v_fma_f64 v[16:17], v[16:17], v[24:25], v[1:2]
	ds_read_b128 v[1:4], v10 offset:1024
	s_waitcnt lgkmcnt(0)
	v_mul_f64 v[14:15], v[22:23], -v[3:4]
	v_fma_f64 v[40:41], v[1:2], v[24:25], v[14:15]
	v_mul_f64 v[1:2], v[22:23], v[1:2]
	v_add_f64 v[14:15], v[26:27], -v[30:31]
	v_add_f64 v[26:27], v[28:29], -v[32:33]
	;; [unrolled: 1-line block ×3, first 2 shown]
	v_fma_f64 v[42:43], v[3:4], v[24:25], v[1:2]
	ds_read_b128 v[1:4], v10 offset:512
	v_add_f64 v[14:15], v[14:15], -v[38:39]
	v_add_f64 v[16:17], v[26:27], -v[16:17]
	v_sub_u32_e64 v10, v0, 4 clamp
	v_lshlrev_b32_e32 v10, 4, v10
	s_waitcnt lgkmcnt(0)
	v_mul_f64 v[28:29], v[22:23], v[3:4]
	v_mul_f64 v[22:23], v[22:23], -v[1:2]
	v_add_f64 v[20:21], v[20:21], -v[42:43]
	; wave barrier
	v_fma_f64 v[1:2], -v[1:2], v[24:25], v[28:29]
	v_fma_f64 v[3:4], -v[3:4], v[24:25], v[22:23]
	ds_write_b128 v11, v[5:8]
	ds_write_b128 v13, v[1:4]
	;; [unrolled: 1-line block ×3, first 2 shown]
	ds_write_b128 v11, v[18:21] offset:1024
	s_waitcnt lgkmcnt(0)
	; wave barrier
	ds_read_b128 v[1:4], v10 offset:256
	ds_read_b128 v[5:8], v10
	s_waitcnt lgkmcnt(1)
	v_mul_f64 v[14:15], v[3:4], v[3:4]
	v_fma_f64 v[22:23], v[1:2], v[1:2], v[14:15]
	v_div_scale_f64 v[14:15], s[8:9], v[22:23], v[22:23], 1.0
	v_rcp_f64_e32 v[16:17], v[14:15]
	v_fma_f64 v[18:19], -v[14:15], v[16:17], 1.0
	v_fma_f64 v[16:17], v[16:17], v[18:19], v[16:17]
	v_div_scale_f64 v[18:19], vcc, 1.0, v[22:23], 1.0
	v_fma_f64 v[20:21], -v[14:15], v[16:17], 1.0
	v_fma_f64 v[16:17], v[16:17], v[20:21], v[16:17]
	v_mul_f64 v[20:21], v[18:19], v[16:17]
	v_fma_f64 v[14:15], -v[14:15], v[20:21], v[18:19]
	v_div_fmas_f64 v[24:25], v[14:15], v[16:17], v[20:21]
	ds_read_b128 v[14:17], v11
	ds_read_b128 v[18:21], v11 offset:1024
	s_waitcnt lgkmcnt(1)
	v_mul_f64 v[26:27], v[3:4], -v[14:15]
	v_mul_f64 v[3:4], v[3:4], v[16:17]
	v_fma_f64 v[16:17], v[16:17], v[1:2], v[26:27]
	v_fma_f64 v[14:15], v[14:15], v[1:2], v[3:4]
	ds_read_b128 v[1:4], v10 offset:512
	v_div_fixup_f64 v[22:23], v[24:25], v[22:23], 1.0
	v_mul_f64 v[24:25], v[22:23], v[16:17]
	v_mul_f64 v[26:27], v[22:23], v[14:15]
	ds_read_b128 v[14:17], v10 offset:1024
	v_min_i32_e32 v10, s4, v36
	v_lshlrev_b32_e32 v10, 4, v10
	v_mul_f64 v[22:23], v[24:25], v[7:8]
	v_mul_f64 v[28:29], v[24:25], -v[5:6]
	s_waitcnt lgkmcnt(1)
	v_mul_f64 v[30:31], v[24:25], -v[3:4]
	v_mul_f64 v[32:33], v[24:25], v[1:2]
	s_waitcnt lgkmcnt(0)
	v_mul_f64 v[34:35], v[24:25], v[14:15]
	v_fma_f64 v[5:6], -v[5:6], v[26:27], v[22:23]
	v_fma_f64 v[7:8], -v[7:8], v[26:27], v[28:29]
	v_mul_f64 v[28:29], v[24:25], -v[16:17]
	ds_read_b128 v[22:25], v10 offset:256
	v_fma_f64 v[30:31], v[1:2], v[26:27], v[30:31]
	v_fma_f64 v[32:33], v[3:4], v[26:27], v[32:33]
	ds_read_b128 v[1:4], v13
	v_fma_f64 v[34:35], v[16:17], v[26:27], v[34:35]
	v_fma_f64 v[36:37], v[14:15], v[26:27], v[28:29]
	s_waitcnt lgkmcnt(0)
	v_mul_f64 v[38:39], v[24:25], v[3:4]
	ds_read_b128 v[14:17], v10
	ds_read_b128 v[26:29], v12
	v_add_f64 v[20:21], v[20:21], -v[34:35]
	v_add_f64 v[18:19], v[18:19], -v[36:37]
	v_fma_f64 v[38:39], v[1:2], v[22:23], v[38:39]
	v_mul_f64 v[1:2], v[24:25], -v[1:2]
	v_fma_f64 v[1:2], v[3:4], v[22:23], v[1:2]
	v_mul_f64 v[3:4], v[24:25], v[24:25]
	v_fma_f64 v[3:4], v[22:23], v[22:23], v[3:4]
	v_div_scale_f64 v[22:23], s[4:5], v[3:4], v[3:4], 1.0
	v_rcp_f64_e32 v[24:25], v[22:23]
	v_fma_f64 v[40:41], -v[22:23], v[24:25], 1.0
	v_fma_f64 v[24:25], v[24:25], v[40:41], v[24:25]
	v_fma_f64 v[40:41], -v[22:23], v[24:25], 1.0
	v_fma_f64 v[24:25], v[24:25], v[40:41], v[24:25]
	v_div_scale_f64 v[40:41], vcc, 1.0, v[3:4], 1.0
	v_mul_f64 v[42:43], v[40:41], v[24:25]
	v_fma_f64 v[22:23], -v[22:23], v[42:43], v[40:41]
	s_nop 1
	v_div_fmas_f64 v[22:23], v[22:23], v[24:25], v[42:43]
	v_cmp_gt_u32_e32 vcc, 8, v0
	v_div_fixup_f64 v[3:4], v[22:23], v[3:4], 1.0
	v_mul_f64 v[22:23], v[3:4], v[1:2]
	v_mul_f64 v[24:25], v[3:4], v[38:39]
	s_waitcnt lgkmcnt(1)
	v_mul_f64 v[1:2], v[22:23], -v[16:17]
	v_fma_f64 v[38:39], v[14:15], v[24:25], v[1:2]
	v_mul_f64 v[1:2], v[22:23], v[14:15]
	v_fma_f64 v[16:17], v[16:17], v[24:25], v[1:2]
	ds_read_b128 v[1:4], v10 offset:1024
	s_waitcnt lgkmcnt(0)
	v_mul_f64 v[14:15], v[22:23], -v[3:4]
	v_fma_f64 v[40:41], v[1:2], v[24:25], v[14:15]
	v_mul_f64 v[1:2], v[22:23], v[1:2]
	v_add_f64 v[14:15], v[26:27], -v[30:31]
	v_add_f64 v[26:27], v[28:29], -v[32:33]
	;; [unrolled: 1-line block ×3, first 2 shown]
	v_fma_f64 v[42:43], v[3:4], v[24:25], v[1:2]
	ds_read_b128 v[1:4], v10 offset:512
	v_add_f64 v[14:15], v[14:15], -v[38:39]
	v_add_f64 v[16:17], v[26:27], -v[16:17]
	s_waitcnt lgkmcnt(0)
	; wave barrier
	v_mul_f64 v[28:29], v[22:23], v[3:4]
	v_mul_f64 v[22:23], v[22:23], -v[1:2]
	v_add_f64 v[20:21], v[20:21], -v[42:43]
	v_fma_f64 v[1:2], -v[1:2], v[24:25], v[28:29]
	v_fma_f64 v[3:4], -v[3:4], v[24:25], v[22:23]
	ds_write_b128 v11, v[5:8]
	ds_write_b128 v13, v[1:4]
	;; [unrolled: 1-line block ×3, first 2 shown]
	ds_write_b128 v11, v[18:21] offset:1024
	s_waitcnt lgkmcnt(0)
	; wave barrier
	s_and_saveexec_b64 s[4:5], vcc
	s_cbranch_execz .LBB86_14
; %bb.9:
	v_or_b32_e32 v5, 8, v0
	v_or_b32_e32 v6, 0x400, v11
	v_cmp_le_i32_e32 vcc, s7, v5
                                        ; implicit-def: $vgpr3_vgpr4
	s_and_saveexec_b64 s[6:7], vcc
	s_xor_b64 s[6:7], exec, s[6:7]
	s_cbranch_execz .LBB86_11
; %bb.10:
	ds_read_b128 v[1:4], v12
	ds_read_b128 v[5:8], v6
	s_waitcnt lgkmcnt(1)
	v_mul_f64 v[12:13], v[3:4], v[3:4]
	v_fma_f64 v[12:13], v[1:2], v[1:2], v[12:13]
	v_div_scale_f64 v[14:15], s[8:9], v[12:13], v[12:13], 1.0
	v_rcp_f64_e32 v[16:17], v[14:15]
	v_fma_f64 v[18:19], -v[14:15], v[16:17], 1.0
	v_fma_f64 v[16:17], v[16:17], v[18:19], v[16:17]
	v_div_scale_f64 v[18:19], vcc, 1.0, v[12:13], 1.0
	v_fma_f64 v[20:21], -v[14:15], v[16:17], 1.0
	v_fma_f64 v[16:17], v[16:17], v[20:21], v[16:17]
	v_mul_f64 v[20:21], v[18:19], v[16:17]
	v_fma_f64 v[14:15], -v[14:15], v[20:21], v[18:19]
	v_div_fmas_f64 v[14:15], v[14:15], v[16:17], v[20:21]
	s_waitcnt lgkmcnt(0)
	v_mul_f64 v[16:17], v[3:4], v[7:8]
	v_mul_f64 v[3:4], v[3:4], -v[5:6]
	v_fma_f64 v[5:6], v[5:6], v[1:2], v[16:17]
	v_fma_f64 v[3:4], v[7:8], v[1:2], v[3:4]
	v_div_fixup_f64 v[12:13], v[14:15], v[12:13], 1.0
	v_mul_f64 v[1:2], v[12:13], v[5:6]
	v_mul_f64 v[3:4], v[12:13], v[3:4]
                                        ; implicit-def: $vgpr12
                                        ; implicit-def: $vgpr13
                                        ; implicit-def: $vgpr6
                                        ; implicit-def: $vgpr5
.LBB86_11:
	s_andn2_saveexec_b64 s[6:7], s[6:7]
	s_cbranch_execz .LBB86_13
; %bb.12:
	ds_read_b128 v[0:3], v12 offset:128
	ds_read_b128 v[13:16], v13
	ds_read_b128 v[17:20], v12
	ds_read_b128 v[21:24], v11 offset:128
	s_waitcnt lgkmcnt(1)
	v_mul_f64 v[7:8], v[19:20], v[0:1]
	s_waitcnt lgkmcnt(0)
	v_mul_f64 v[25:26], v[23:24], v[13:14]
	v_mul_f64 v[27:28], v[19:20], -v[2:3]
	v_mul_f64 v[29:30], v[23:24], -v[15:16]
	v_fma_f64 v[7:8], v[2:3], v[17:18], v[7:8]
	v_fma_f64 v[25:26], v[15:16], v[21:22], v[25:26]
	;; [unrolled: 1-line block ×4, first 2 shown]
	v_add_f64 v[7:8], v[7:8], -v[25:26]
	v_add_f64 v[33:34], v[27:28], -v[29:30]
	v_mul_f64 v[25:26], v[7:8], v[7:8]
	v_fma_f64 v[35:36], v[33:34], v[33:34], v[25:26]
	v_div_scale_f64 v[25:26], s[8:9], v[35:36], v[35:36], 1.0
	v_rcp_f64_e32 v[27:28], v[25:26]
	v_fma_f64 v[29:30], -v[25:26], v[27:28], 1.0
	v_fma_f64 v[27:28], v[27:28], v[29:30], v[27:28]
	v_div_scale_f64 v[29:30], vcc, 1.0, v[35:36], 1.0
	v_fma_f64 v[31:32], -v[25:26], v[27:28], 1.0
	v_fma_f64 v[37:38], v[27:28], v[31:32], v[27:28]
	v_mul_f64 v[39:40], v[29:30], v[37:38]
	v_fma_f64 v[41:42], -v[25:26], v[39:40], v[29:30]
	ds_read_b128 v[25:28], v6 offset:128
	ds_read_b128 v[29:32], v6
	s_waitcnt lgkmcnt(1)
	v_mul_f64 v[43:44], v[19:20], -v[27:28]
	v_mul_f64 v[19:20], v[19:20], v[25:26]
	s_waitcnt lgkmcnt(0)
	v_mul_f64 v[45:46], v[0:1], v[31:32]
	v_div_fmas_f64 v[37:38], v[41:42], v[37:38], v[39:40]
	v_mul_f64 v[39:40], v[27:28], -v[15:16]
	v_mul_f64 v[41:42], v[13:14], v[27:28]
	v_fma_f64 v[43:44], v[25:26], v[17:18], v[43:44]
	v_fma_f64 v[17:18], v[27:28], v[17:18], v[19:20]
	v_mul_f64 v[19:20], v[31:32], -v[2:3]
	v_mul_f64 v[27:28], v[23:24], v[29:30]
	v_mul_f64 v[23:24], v[23:24], -v[31:32]
	v_fma_f64 v[12:13], v[13:14], v[25:26], v[39:40]
	v_fma_f64 v[14:15], v[15:16], v[25:26], v[41:42]
	;; [unrolled: 1-line block ×3, first 2 shown]
	v_fma_f64 v[25:26], v[33:34], 0, -v[7:8]
	v_fma_f64 v[6:7], v[7:8], 0, v[33:34]
	v_fma_f64 v[0:1], v[0:1], v[29:30], v[19:20]
	v_div_fixup_f64 v[35:36], v[37:38], v[35:36], 1.0
	v_fma_f64 v[19:20], v[31:32], v[21:22], v[27:28]
	v_fma_f64 v[21:22], v[29:30], v[21:22], v[23:24]
	v_add_f64 v[2:3], v[2:3], -v[14:15]
	v_add_f64 v[0:1], v[0:1], -v[12:13]
	v_mul_f64 v[14:15], v[25:26], v[35:36]
	v_add_f64 v[16:17], v[17:18], -v[19:20]
	v_add_f64 v[18:19], v[43:44], -v[21:22]
	v_mul_f64 v[6:7], v[6:7], v[35:36]
	v_mul_f64 v[12:13], v[14:15], -v[2:3]
	v_mul_f64 v[20:21], v[14:15], v[0:1]
	v_mul_f64 v[22:23], v[14:15], -v[16:17]
	v_mul_f64 v[24:25], v[14:15], v[18:19]
	v_fma_f64 v[12:13], v[0:1], v[6:7], v[12:13]
	v_fma_f64 v[14:15], v[2:3], v[6:7], v[20:21]
	;; [unrolled: 1-line block ×4, first 2 shown]
	v_mov_b32_e32 v0, v5
	ds_write_b128 v11, v[12:15] offset:768
.LBB86_13:
	s_or_b64 exec, exec, s[6:7]
	v_lshlrev_b32_e32 v0, 4, v0
	ds_write_b128 v0, v[1:4] offset:768
.LBB86_14:
	s_or_b64 exec, exec, s[4:5]
	s_waitcnt lgkmcnt(0)
	; wave barrier
	s_and_saveexec_b64 s[4:5], s[0:1]
	s_cbranch_execz .LBB86_16
; %bb.15:
	v_mov_b32_e32 v10, 0
	ds_read2_b64 v[0:3], v11 offset0:96 offset1:97
	v_lshlrev_b64 v[4:5], 4, v[9:10]
	v_mov_b32_e32 v6, s3
	v_add_co_u32_e32 v4, vcc, s2, v4
	v_addc_co_u32_e32 v5, vcc, v6, v5, vcc
	s_waitcnt lgkmcnt(0)
	global_store_dwordx4 v[4:5], v[0:3], off
.LBB86_16:
	s_endpgm
	.section	.rodata,"a",@progbits
	.p2align	6, 0x0
	.amdhsa_kernel _ZN9rocsparseL30gtsv_nopivot_pcr_shared_kernelILj16E21rocsparse_complex_numIdEEEviiiPKT0_S5_S5_PS3_
		.amdhsa_group_segment_fixed_size 1280
		.amdhsa_private_segment_fixed_size 0
		.amdhsa_kernarg_size 48
		.amdhsa_user_sgpr_count 6
		.amdhsa_user_sgpr_private_segment_buffer 1
		.amdhsa_user_sgpr_dispatch_ptr 0
		.amdhsa_user_sgpr_queue_ptr 0
		.amdhsa_user_sgpr_kernarg_segment_ptr 1
		.amdhsa_user_sgpr_dispatch_id 0
		.amdhsa_user_sgpr_flat_scratch_init 0
		.amdhsa_user_sgpr_private_segment_size 0
		.amdhsa_uses_dynamic_stack 0
		.amdhsa_system_sgpr_private_segment_wavefront_offset 0
		.amdhsa_system_sgpr_workgroup_id_x 1
		.amdhsa_system_sgpr_workgroup_id_y 0
		.amdhsa_system_sgpr_workgroup_id_z 0
		.amdhsa_system_sgpr_workgroup_info 0
		.amdhsa_system_vgpr_workitem_id 0
		.amdhsa_next_free_vgpr 47
		.amdhsa_next_free_sgpr 12
		.amdhsa_reserve_vcc 1
		.amdhsa_reserve_flat_scratch 0
		.amdhsa_float_round_mode_32 0
		.amdhsa_float_round_mode_16_64 0
		.amdhsa_float_denorm_mode_32 3
		.amdhsa_float_denorm_mode_16_64 3
		.amdhsa_dx10_clamp 1
		.amdhsa_ieee_mode 1
		.amdhsa_fp16_overflow 0
		.amdhsa_exception_fp_ieee_invalid_op 0
		.amdhsa_exception_fp_denorm_src 0
		.amdhsa_exception_fp_ieee_div_zero 0
		.amdhsa_exception_fp_ieee_overflow 0
		.amdhsa_exception_fp_ieee_underflow 0
		.amdhsa_exception_fp_ieee_inexact 0
		.amdhsa_exception_int_div_zero 0
	.end_amdhsa_kernel
	.section	.text._ZN9rocsparseL30gtsv_nopivot_pcr_shared_kernelILj16E21rocsparse_complex_numIdEEEviiiPKT0_S5_S5_PS3_,"axG",@progbits,_ZN9rocsparseL30gtsv_nopivot_pcr_shared_kernelILj16E21rocsparse_complex_numIdEEEviiiPKT0_S5_S5_PS3_,comdat
.Lfunc_end86:
	.size	_ZN9rocsparseL30gtsv_nopivot_pcr_shared_kernelILj16E21rocsparse_complex_numIdEEEviiiPKT0_S5_S5_PS3_, .Lfunc_end86-_ZN9rocsparseL30gtsv_nopivot_pcr_shared_kernelILj16E21rocsparse_complex_numIdEEEviiiPKT0_S5_S5_PS3_
                                        ; -- End function
	.set _ZN9rocsparseL30gtsv_nopivot_pcr_shared_kernelILj16E21rocsparse_complex_numIdEEEviiiPKT0_S5_S5_PS3_.num_vgpr, 47
	.set _ZN9rocsparseL30gtsv_nopivot_pcr_shared_kernelILj16E21rocsparse_complex_numIdEEEviiiPKT0_S5_S5_PS3_.num_agpr, 0
	.set _ZN9rocsparseL30gtsv_nopivot_pcr_shared_kernelILj16E21rocsparse_complex_numIdEEEviiiPKT0_S5_S5_PS3_.numbered_sgpr, 12
	.set _ZN9rocsparseL30gtsv_nopivot_pcr_shared_kernelILj16E21rocsparse_complex_numIdEEEviiiPKT0_S5_S5_PS3_.num_named_barrier, 0
	.set _ZN9rocsparseL30gtsv_nopivot_pcr_shared_kernelILj16E21rocsparse_complex_numIdEEEviiiPKT0_S5_S5_PS3_.private_seg_size, 0
	.set _ZN9rocsparseL30gtsv_nopivot_pcr_shared_kernelILj16E21rocsparse_complex_numIdEEEviiiPKT0_S5_S5_PS3_.uses_vcc, 1
	.set _ZN9rocsparseL30gtsv_nopivot_pcr_shared_kernelILj16E21rocsparse_complex_numIdEEEviiiPKT0_S5_S5_PS3_.uses_flat_scratch, 0
	.set _ZN9rocsparseL30gtsv_nopivot_pcr_shared_kernelILj16E21rocsparse_complex_numIdEEEviiiPKT0_S5_S5_PS3_.has_dyn_sized_stack, 0
	.set _ZN9rocsparseL30gtsv_nopivot_pcr_shared_kernelILj16E21rocsparse_complex_numIdEEEviiiPKT0_S5_S5_PS3_.has_recursion, 0
	.set _ZN9rocsparseL30gtsv_nopivot_pcr_shared_kernelILj16E21rocsparse_complex_numIdEEEviiiPKT0_S5_S5_PS3_.has_indirect_call, 0
	.section	.AMDGPU.csdata,"",@progbits
; Kernel info:
; codeLenInByte = 3376
; TotalNumSgprs: 16
; NumVgprs: 47
; ScratchSize: 0
; MemoryBound: 1
; FloatMode: 240
; IeeeMode: 1
; LDSByteSize: 1280 bytes/workgroup (compile time only)
; SGPRBlocks: 1
; VGPRBlocks: 11
; NumSGPRsForWavesPerEU: 16
; NumVGPRsForWavesPerEU: 47
; Occupancy: 5
; WaveLimiterHint : 0
; COMPUTE_PGM_RSRC2:SCRATCH_EN: 0
; COMPUTE_PGM_RSRC2:USER_SGPR: 6
; COMPUTE_PGM_RSRC2:TRAP_HANDLER: 0
; COMPUTE_PGM_RSRC2:TGID_X_EN: 1
; COMPUTE_PGM_RSRC2:TGID_Y_EN: 0
; COMPUTE_PGM_RSRC2:TGID_Z_EN: 0
; COMPUTE_PGM_RSRC2:TIDIG_COMP_CNT: 0
	.section	.text._ZN9rocsparseL30gtsv_nopivot_pcr_shared_kernelILj32E21rocsparse_complex_numIdEEEviiiPKT0_S5_S5_PS3_,"axG",@progbits,_ZN9rocsparseL30gtsv_nopivot_pcr_shared_kernelILj32E21rocsparse_complex_numIdEEEviiiPKT0_S5_S5_PS3_,comdat
	.globl	_ZN9rocsparseL30gtsv_nopivot_pcr_shared_kernelILj32E21rocsparse_complex_numIdEEEviiiPKT0_S5_S5_PS3_ ; -- Begin function _ZN9rocsparseL30gtsv_nopivot_pcr_shared_kernelILj32E21rocsparse_complex_numIdEEEviiiPKT0_S5_S5_PS3_
	.p2align	8
	.type	_ZN9rocsparseL30gtsv_nopivot_pcr_shared_kernelILj32E21rocsparse_complex_numIdEEEviiiPKT0_S5_S5_PS3_,@function
_ZN9rocsparseL30gtsv_nopivot_pcr_shared_kernelILj32E21rocsparse_complex_numIdEEEviiiPKT0_S5_S5_PS3_: ; @_ZN9rocsparseL30gtsv_nopivot_pcr_shared_kernelILj32E21rocsparse_complex_numIdEEEviiiPKT0_S5_S5_PS3_
; %bb.0:
	s_load_dword s7, s[4:5], 0x0
	v_mov_b32_e32 v1, 0
	v_mov_b32_e32 v5, 0
	;; [unrolled: 1-line block ×5, first 2 shown]
	s_waitcnt lgkmcnt(0)
	v_cmp_gt_i32_e64 s[0:1], s7, v0
	v_mov_b32_e32 v8, 0
	v_lshlrev_b32_e32 v11, 4, v0
	s_and_saveexec_b64 s[2:3], s[0:1]
	s_cbranch_execz .LBB87_2
; %bb.1:
	s_load_dwordx2 s[8:9], s[4:5], 0x10
	s_waitcnt lgkmcnt(0)
	global_load_dwordx4 v[5:8], v11, s[8:9]
.LBB87_2:
	s_or_b64 exec, exec, s[2:3]
	v_mov_b32_e32 v3, 0
	v_mov_b32_e32 v4, 0
	s_waitcnt vmcnt(0)
	ds_write_b128 v11, v[5:8]
	s_and_saveexec_b64 s[2:3], s[0:1]
	s_cbranch_execz .LBB87_4
; %bb.3:
	s_load_dwordx2 s[8:9], s[4:5], 0x18
	s_waitcnt lgkmcnt(0)
	global_load_dwordx4 v[1:4], v11, s[8:9]
.LBB87_4:
	s_or_b64 exec, exec, s[2:3]
	s_load_dwordx2 s[2:3], s[4:5], 0x28
	v_mov_b32_e32 v5, 0
	v_mov_b32_e32 v7, 0
	;; [unrolled: 1-line block ×6, first 2 shown]
	s_waitcnt vmcnt(0)
	ds_write_b128 v11, v[1:4] offset:512
	s_and_saveexec_b64 s[8:9], s[0:1]
	s_cbranch_execz .LBB87_6
; %bb.5:
	s_load_dwordx2 s[10:11], s[4:5], 0x20
	s_waitcnt lgkmcnt(0)
	global_load_dwordx4 v[7:10], v11, s[10:11]
.LBB87_6:
	s_or_b64 exec, exec, s[8:9]
	s_load_dword s4, s[4:5], 0x8
	s_waitcnt vmcnt(0)
	ds_write_b128 v11, v[7:10] offset:1024
	v_mov_b32_e32 v7, 0
	v_or_b32_e32 v12, 0x200, v11
	v_or_b32_e32 v13, 0x400, v11
	s_waitcnt lgkmcnt(0)
	s_mul_i32 s4, s4, s6
	v_mov_b32_e32 v8, 0
	v_add_u32_e32 v9, s4, v0
	s_and_saveexec_b64 s[4:5], s[0:1]
	s_cbranch_execz .LBB87_8
; %bb.7:
	v_mov_b32_e32 v10, 0
	v_lshlrev_b64 v[1:2], 4, v[9:10]
	v_mov_b32_e32 v3, s3
	v_add_co_u32_e32 v1, vcc, s2, v1
	v_addc_co_u32_e32 v2, vcc, v3, v2, vcc
	global_load_dwordx4 v[5:8], v[1:2], off
.LBB87_8:
	s_or_b64 exec, exec, s[4:5]
	v_sub_u32_e64 v1, v0, 1 clamp
	v_lshlrev_b32_e32 v10, 4, v1
	s_waitcnt vmcnt(0)
	ds_write_b128 v11, v[5:8] offset:2048
	s_waitcnt lgkmcnt(0)
	; wave barrier
	ds_read_b128 v[1:4], v10 offset:512
	ds_read_b128 v[5:8], v10
	v_add_u32_e32 v36, 1, v0
	s_waitcnt lgkmcnt(1)
	v_mul_f64 v[14:15], v[3:4], v[3:4]
	v_fma_f64 v[22:23], v[1:2], v[1:2], v[14:15]
	v_div_scale_f64 v[14:15], s[4:5], v[22:23], v[22:23], 1.0
	s_add_i32 s4, s7, -1
	v_rcp_f64_e32 v[16:17], v[14:15]
	v_fma_f64 v[18:19], -v[14:15], v[16:17], 1.0
	v_fma_f64 v[16:17], v[16:17], v[18:19], v[16:17]
	v_div_scale_f64 v[18:19], vcc, 1.0, v[22:23], 1.0
	v_fma_f64 v[20:21], -v[14:15], v[16:17], 1.0
	v_fma_f64 v[16:17], v[16:17], v[20:21], v[16:17]
	v_mul_f64 v[20:21], v[18:19], v[16:17]
	v_fma_f64 v[14:15], -v[14:15], v[20:21], v[18:19]
	v_div_fmas_f64 v[24:25], v[14:15], v[16:17], v[20:21]
	ds_read_b128 v[14:17], v11
	ds_read_b128 v[18:21], v11 offset:2048
	s_waitcnt lgkmcnt(1)
	v_mul_f64 v[26:27], v[3:4], -v[14:15]
	v_mul_f64 v[3:4], v[3:4], v[16:17]
	v_fma_f64 v[16:17], v[16:17], v[1:2], v[26:27]
	v_fma_f64 v[14:15], v[14:15], v[1:2], v[3:4]
	ds_read_b128 v[1:4], v10 offset:1024
	v_div_fixup_f64 v[22:23], v[24:25], v[22:23], 1.0
	v_mul_f64 v[24:25], v[22:23], v[16:17]
	v_mul_f64 v[26:27], v[22:23], v[14:15]
	ds_read_b128 v[14:17], v10 offset:2048
	v_min_i32_e32 v10, s4, v36
	v_lshlrev_b32_e32 v10, 4, v10
	v_mul_f64 v[22:23], v[24:25], v[7:8]
	v_mul_f64 v[28:29], v[24:25], -v[5:6]
	s_waitcnt lgkmcnt(1)
	v_mul_f64 v[30:31], v[24:25], -v[3:4]
	v_mul_f64 v[32:33], v[24:25], v[1:2]
	s_waitcnt lgkmcnt(0)
	v_mul_f64 v[34:35], v[24:25], v[14:15]
	v_fma_f64 v[5:6], -v[5:6], v[26:27], v[22:23]
	v_fma_f64 v[7:8], -v[7:8], v[26:27], v[28:29]
	v_mul_f64 v[28:29], v[24:25], -v[16:17]
	ds_read_b128 v[22:25], v13
	v_fma_f64 v[30:31], v[1:2], v[26:27], v[30:31]
	v_fma_f64 v[32:33], v[3:4], v[26:27], v[32:33]
	ds_read_b128 v[1:4], v10 offset:512
	v_fma_f64 v[34:35], v[16:17], v[26:27], v[34:35]
	v_fma_f64 v[36:37], v[14:15], v[26:27], v[28:29]
	s_waitcnt lgkmcnt(0)
	v_mul_f64 v[38:39], v[3:4], v[24:25]
	ds_read_b128 v[14:17], v12
	ds_read_b128 v[26:29], v10
	v_add_f64 v[20:21], v[20:21], -v[34:35]
	s_waitcnt lgkmcnt(1)
	v_add_f64 v[14:15], v[14:15], -v[30:31]
	v_add_f64 v[16:17], v[16:17], -v[32:33]
	v_add_f64 v[18:19], v[18:19], -v[36:37]
	v_fma_f64 v[38:39], v[22:23], v[1:2], v[38:39]
	v_mul_f64 v[22:23], v[3:4], -v[22:23]
	v_mul_f64 v[3:4], v[3:4], v[3:4]
	v_add_u32_e32 v36, 2, v0
	v_fma_f64 v[22:23], v[24:25], v[1:2], v[22:23]
	v_fma_f64 v[1:2], v[1:2], v[1:2], v[3:4]
	v_div_scale_f64 v[3:4], s[8:9], v[1:2], v[1:2], 1.0
	v_rcp_f64_e32 v[24:25], v[3:4]
	v_fma_f64 v[40:41], -v[3:4], v[24:25], 1.0
	v_fma_f64 v[24:25], v[24:25], v[40:41], v[24:25]
	v_fma_f64 v[40:41], -v[3:4], v[24:25], 1.0
	v_fma_f64 v[24:25], v[24:25], v[40:41], v[24:25]
	v_div_scale_f64 v[40:41], vcc, 1.0, v[1:2], 1.0
	v_mul_f64 v[42:43], v[40:41], v[24:25]
	v_fma_f64 v[3:4], -v[3:4], v[42:43], v[40:41]
	s_nop 1
	v_div_fmas_f64 v[3:4], v[3:4], v[24:25], v[42:43]
	v_div_fixup_f64 v[1:2], v[3:4], v[1:2], 1.0
	v_mul_f64 v[22:23], v[1:2], v[22:23]
	v_mul_f64 v[24:25], v[1:2], v[38:39]
	s_waitcnt lgkmcnt(0)
	v_mul_f64 v[1:2], v[22:23], -v[28:29]
	v_fma_f64 v[38:39], v[26:27], v[24:25], v[1:2]
	v_mul_f64 v[1:2], v[22:23], v[26:27]
	v_add_f64 v[14:15], v[14:15], -v[38:39]
	v_fma_f64 v[26:27], v[28:29], v[24:25], v[1:2]
	ds_read_b128 v[1:4], v10 offset:2048
	s_waitcnt lgkmcnt(0)
	v_mul_f64 v[28:29], v[22:23], -v[3:4]
	v_add_f64 v[16:17], v[16:17], -v[26:27]
	v_fma_f64 v[28:29], v[1:2], v[24:25], v[28:29]
	v_mul_f64 v[1:2], v[22:23], v[1:2]
	v_add_f64 v[18:19], v[18:19], -v[28:29]
	v_fma_f64 v[40:41], v[3:4], v[24:25], v[1:2]
	ds_read_b128 v[1:4], v10 offset:1024
	v_sub_u32_e64 v10, v0, 2 clamp
	v_lshlrev_b32_e32 v10, 4, v10
	s_waitcnt lgkmcnt(0)
	; wave barrier
	v_mul_f64 v[30:31], v[22:23], v[3:4]
	v_mul_f64 v[22:23], v[22:23], -v[1:2]
	v_add_f64 v[20:21], v[20:21], -v[40:41]
	v_fma_f64 v[1:2], -v[1:2], v[24:25], v[30:31]
	v_fma_f64 v[3:4], -v[3:4], v[24:25], v[22:23]
	ds_write_b128 v11, v[5:8]
	ds_write_b128 v13, v[1:4]
	;; [unrolled: 1-line block ×3, first 2 shown]
	ds_write_b128 v11, v[18:21] offset:2048
	s_waitcnt lgkmcnt(0)
	; wave barrier
	ds_read_b128 v[1:4], v10 offset:512
	ds_read_b128 v[5:8], v10
	s_waitcnt lgkmcnt(1)
	v_mul_f64 v[14:15], v[3:4], v[3:4]
	v_fma_f64 v[22:23], v[1:2], v[1:2], v[14:15]
	v_div_scale_f64 v[14:15], s[8:9], v[22:23], v[22:23], 1.0
	v_rcp_f64_e32 v[16:17], v[14:15]
	v_fma_f64 v[18:19], -v[14:15], v[16:17], 1.0
	v_fma_f64 v[16:17], v[16:17], v[18:19], v[16:17]
	v_div_scale_f64 v[18:19], vcc, 1.0, v[22:23], 1.0
	v_fma_f64 v[20:21], -v[14:15], v[16:17], 1.0
	v_fma_f64 v[16:17], v[16:17], v[20:21], v[16:17]
	v_mul_f64 v[20:21], v[18:19], v[16:17]
	v_fma_f64 v[14:15], -v[14:15], v[20:21], v[18:19]
	v_div_fmas_f64 v[24:25], v[14:15], v[16:17], v[20:21]
	ds_read_b128 v[14:17], v11
	ds_read_b128 v[18:21], v11 offset:2048
	s_waitcnt lgkmcnt(1)
	v_mul_f64 v[26:27], v[3:4], -v[14:15]
	v_mul_f64 v[3:4], v[3:4], v[16:17]
	v_fma_f64 v[16:17], v[16:17], v[1:2], v[26:27]
	v_fma_f64 v[14:15], v[14:15], v[1:2], v[3:4]
	ds_read_b128 v[1:4], v10 offset:1024
	v_div_fixup_f64 v[22:23], v[24:25], v[22:23], 1.0
	v_mul_f64 v[24:25], v[22:23], v[16:17]
	v_mul_f64 v[26:27], v[22:23], v[14:15]
	ds_read_b128 v[14:17], v10 offset:2048
	v_min_i32_e32 v10, s4, v36
	v_lshlrev_b32_e32 v10, 4, v10
	v_mul_f64 v[22:23], v[24:25], v[7:8]
	v_mul_f64 v[28:29], v[24:25], -v[5:6]
	s_waitcnt lgkmcnt(1)
	v_mul_f64 v[30:31], v[24:25], -v[3:4]
	v_mul_f64 v[32:33], v[24:25], v[1:2]
	s_waitcnt lgkmcnt(0)
	v_mul_f64 v[34:35], v[24:25], v[14:15]
	v_fma_f64 v[5:6], -v[5:6], v[26:27], v[22:23]
	v_fma_f64 v[7:8], -v[7:8], v[26:27], v[28:29]
	v_mul_f64 v[28:29], v[24:25], -v[16:17]
	ds_read_b128 v[22:25], v10 offset:512
	v_fma_f64 v[30:31], v[1:2], v[26:27], v[30:31]
	v_fma_f64 v[32:33], v[3:4], v[26:27], v[32:33]
	ds_read_b128 v[1:4], v13
	v_fma_f64 v[34:35], v[16:17], v[26:27], v[34:35]
	v_fma_f64 v[36:37], v[14:15], v[26:27], v[28:29]
	s_waitcnt lgkmcnt(0)
	v_mul_f64 v[38:39], v[24:25], v[3:4]
	ds_read_b128 v[14:17], v10
	ds_read_b128 v[26:29], v12
	v_add_f64 v[20:21], v[20:21], -v[34:35]
	v_add_f64 v[18:19], v[18:19], -v[36:37]
	v_fma_f64 v[38:39], v[1:2], v[22:23], v[38:39]
	v_mul_f64 v[1:2], v[24:25], -v[1:2]
	v_add_u32_e32 v36, 4, v0
	v_fma_f64 v[1:2], v[3:4], v[22:23], v[1:2]
	v_mul_f64 v[3:4], v[24:25], v[24:25]
	v_fma_f64 v[3:4], v[22:23], v[22:23], v[3:4]
	v_div_scale_f64 v[22:23], s[8:9], v[3:4], v[3:4], 1.0
	v_rcp_f64_e32 v[24:25], v[22:23]
	v_fma_f64 v[40:41], -v[22:23], v[24:25], 1.0
	v_fma_f64 v[24:25], v[24:25], v[40:41], v[24:25]
	v_fma_f64 v[40:41], -v[22:23], v[24:25], 1.0
	v_fma_f64 v[24:25], v[24:25], v[40:41], v[24:25]
	v_div_scale_f64 v[40:41], vcc, 1.0, v[3:4], 1.0
	v_mul_f64 v[42:43], v[40:41], v[24:25]
	v_fma_f64 v[22:23], -v[22:23], v[42:43], v[40:41]
	s_nop 1
	v_div_fmas_f64 v[22:23], v[22:23], v[24:25], v[42:43]
	v_div_fixup_f64 v[3:4], v[22:23], v[3:4], 1.0
	v_mul_f64 v[22:23], v[3:4], v[1:2]
	v_mul_f64 v[24:25], v[3:4], v[38:39]
	s_waitcnt lgkmcnt(1)
	v_mul_f64 v[1:2], v[22:23], -v[16:17]
	v_fma_f64 v[38:39], v[14:15], v[24:25], v[1:2]
	v_mul_f64 v[1:2], v[22:23], v[14:15]
	v_fma_f64 v[16:17], v[16:17], v[24:25], v[1:2]
	ds_read_b128 v[1:4], v10 offset:2048
	s_waitcnt lgkmcnt(0)
	v_mul_f64 v[14:15], v[22:23], -v[3:4]
	v_fma_f64 v[40:41], v[1:2], v[24:25], v[14:15]
	v_mul_f64 v[1:2], v[22:23], v[1:2]
	v_add_f64 v[14:15], v[26:27], -v[30:31]
	v_add_f64 v[26:27], v[28:29], -v[32:33]
	v_add_f64 v[18:19], v[18:19], -v[40:41]
	v_fma_f64 v[42:43], v[3:4], v[24:25], v[1:2]
	ds_read_b128 v[1:4], v10 offset:1024
	v_add_f64 v[14:15], v[14:15], -v[38:39]
	v_add_f64 v[16:17], v[26:27], -v[16:17]
	v_sub_u32_e64 v10, v0, 4 clamp
	v_lshlrev_b32_e32 v10, 4, v10
	s_waitcnt lgkmcnt(0)
	v_mul_f64 v[28:29], v[22:23], v[3:4]
	v_mul_f64 v[22:23], v[22:23], -v[1:2]
	v_add_f64 v[20:21], v[20:21], -v[42:43]
	; wave barrier
	v_fma_f64 v[1:2], -v[1:2], v[24:25], v[28:29]
	v_fma_f64 v[3:4], -v[3:4], v[24:25], v[22:23]
	ds_write_b128 v11, v[5:8]
	ds_write_b128 v13, v[1:4]
	;; [unrolled: 1-line block ×3, first 2 shown]
	ds_write_b128 v11, v[18:21] offset:2048
	s_waitcnt lgkmcnt(0)
	; wave barrier
	ds_read_b128 v[1:4], v10 offset:512
	ds_read_b128 v[5:8], v10
	s_waitcnt lgkmcnt(1)
	v_mul_f64 v[14:15], v[3:4], v[3:4]
	v_fma_f64 v[22:23], v[1:2], v[1:2], v[14:15]
	v_div_scale_f64 v[14:15], s[8:9], v[22:23], v[22:23], 1.0
	v_rcp_f64_e32 v[16:17], v[14:15]
	v_fma_f64 v[18:19], -v[14:15], v[16:17], 1.0
	v_fma_f64 v[16:17], v[16:17], v[18:19], v[16:17]
	v_div_scale_f64 v[18:19], vcc, 1.0, v[22:23], 1.0
	v_fma_f64 v[20:21], -v[14:15], v[16:17], 1.0
	v_fma_f64 v[16:17], v[16:17], v[20:21], v[16:17]
	v_mul_f64 v[20:21], v[18:19], v[16:17]
	v_fma_f64 v[14:15], -v[14:15], v[20:21], v[18:19]
	v_div_fmas_f64 v[24:25], v[14:15], v[16:17], v[20:21]
	ds_read_b128 v[14:17], v11
	ds_read_b128 v[18:21], v11 offset:2048
	s_waitcnt lgkmcnt(1)
	v_mul_f64 v[26:27], v[3:4], -v[14:15]
	v_mul_f64 v[3:4], v[3:4], v[16:17]
	v_fma_f64 v[16:17], v[16:17], v[1:2], v[26:27]
	v_fma_f64 v[14:15], v[14:15], v[1:2], v[3:4]
	ds_read_b128 v[1:4], v10 offset:1024
	v_div_fixup_f64 v[22:23], v[24:25], v[22:23], 1.0
	v_mul_f64 v[24:25], v[22:23], v[16:17]
	v_mul_f64 v[26:27], v[22:23], v[14:15]
	ds_read_b128 v[14:17], v10 offset:2048
	v_min_i32_e32 v10, s4, v36
	v_lshlrev_b32_e32 v10, 4, v10
	v_mul_f64 v[22:23], v[24:25], v[7:8]
	v_mul_f64 v[28:29], v[24:25], -v[5:6]
	s_waitcnt lgkmcnt(1)
	v_mul_f64 v[30:31], v[24:25], -v[3:4]
	v_mul_f64 v[32:33], v[24:25], v[1:2]
	s_waitcnt lgkmcnt(0)
	v_mul_f64 v[34:35], v[24:25], v[14:15]
	v_fma_f64 v[5:6], -v[5:6], v[26:27], v[22:23]
	v_fma_f64 v[7:8], -v[7:8], v[26:27], v[28:29]
	v_mul_f64 v[28:29], v[24:25], -v[16:17]
	ds_read_b128 v[22:25], v10 offset:512
	v_fma_f64 v[30:31], v[1:2], v[26:27], v[30:31]
	v_fma_f64 v[32:33], v[3:4], v[26:27], v[32:33]
	ds_read_b128 v[1:4], v13
	v_fma_f64 v[34:35], v[16:17], v[26:27], v[34:35]
	v_fma_f64 v[36:37], v[14:15], v[26:27], v[28:29]
	s_waitcnt lgkmcnt(0)
	v_mul_f64 v[38:39], v[24:25], v[3:4]
	ds_read_b128 v[14:17], v10
	ds_read_b128 v[26:29], v12
	v_add_f64 v[20:21], v[20:21], -v[34:35]
	v_add_f64 v[18:19], v[18:19], -v[36:37]
	v_fma_f64 v[38:39], v[1:2], v[22:23], v[38:39]
	v_mul_f64 v[1:2], v[24:25], -v[1:2]
	v_add_u32_e32 v36, 8, v0
	v_fma_f64 v[1:2], v[3:4], v[22:23], v[1:2]
	v_mul_f64 v[3:4], v[24:25], v[24:25]
	v_fma_f64 v[3:4], v[22:23], v[22:23], v[3:4]
	v_div_scale_f64 v[22:23], s[8:9], v[3:4], v[3:4], 1.0
	v_rcp_f64_e32 v[24:25], v[22:23]
	v_fma_f64 v[40:41], -v[22:23], v[24:25], 1.0
	v_fma_f64 v[24:25], v[24:25], v[40:41], v[24:25]
	v_fma_f64 v[40:41], -v[22:23], v[24:25], 1.0
	v_fma_f64 v[24:25], v[24:25], v[40:41], v[24:25]
	v_div_scale_f64 v[40:41], vcc, 1.0, v[3:4], 1.0
	v_mul_f64 v[42:43], v[40:41], v[24:25]
	v_fma_f64 v[22:23], -v[22:23], v[42:43], v[40:41]
	s_nop 1
	v_div_fmas_f64 v[22:23], v[22:23], v[24:25], v[42:43]
	v_div_fixup_f64 v[3:4], v[22:23], v[3:4], 1.0
	v_mul_f64 v[22:23], v[3:4], v[1:2]
	v_mul_f64 v[24:25], v[3:4], v[38:39]
	s_waitcnt lgkmcnt(1)
	v_mul_f64 v[1:2], v[22:23], -v[16:17]
	v_fma_f64 v[38:39], v[14:15], v[24:25], v[1:2]
	v_mul_f64 v[1:2], v[22:23], v[14:15]
	v_fma_f64 v[16:17], v[16:17], v[24:25], v[1:2]
	ds_read_b128 v[1:4], v10 offset:2048
	s_waitcnt lgkmcnt(0)
	v_mul_f64 v[14:15], v[22:23], -v[3:4]
	v_fma_f64 v[40:41], v[1:2], v[24:25], v[14:15]
	v_mul_f64 v[1:2], v[22:23], v[1:2]
	v_add_f64 v[14:15], v[26:27], -v[30:31]
	v_add_f64 v[26:27], v[28:29], -v[32:33]
	v_add_f64 v[18:19], v[18:19], -v[40:41]
	v_fma_f64 v[42:43], v[3:4], v[24:25], v[1:2]
	ds_read_b128 v[1:4], v10 offset:1024
	v_add_f64 v[14:15], v[14:15], -v[38:39]
	v_add_f64 v[16:17], v[26:27], -v[16:17]
	v_sub_u32_e64 v10, v0, 8 clamp
	v_lshlrev_b32_e32 v10, 4, v10
	s_waitcnt lgkmcnt(0)
	v_mul_f64 v[28:29], v[22:23], v[3:4]
	v_mul_f64 v[22:23], v[22:23], -v[1:2]
	v_add_f64 v[20:21], v[20:21], -v[42:43]
	; wave barrier
	v_fma_f64 v[1:2], -v[1:2], v[24:25], v[28:29]
	v_fma_f64 v[3:4], -v[3:4], v[24:25], v[22:23]
	ds_write_b128 v11, v[5:8]
	ds_write_b128 v13, v[1:4]
	;; [unrolled: 1-line block ×3, first 2 shown]
	ds_write_b128 v11, v[18:21] offset:2048
	s_waitcnt lgkmcnt(0)
	; wave barrier
	ds_read_b128 v[1:4], v10 offset:512
	ds_read_b128 v[5:8], v10
	s_waitcnt lgkmcnt(1)
	v_mul_f64 v[14:15], v[3:4], v[3:4]
	v_fma_f64 v[22:23], v[1:2], v[1:2], v[14:15]
	v_div_scale_f64 v[14:15], s[8:9], v[22:23], v[22:23], 1.0
	v_rcp_f64_e32 v[16:17], v[14:15]
	v_fma_f64 v[18:19], -v[14:15], v[16:17], 1.0
	v_fma_f64 v[16:17], v[16:17], v[18:19], v[16:17]
	v_div_scale_f64 v[18:19], vcc, 1.0, v[22:23], 1.0
	v_fma_f64 v[20:21], -v[14:15], v[16:17], 1.0
	v_fma_f64 v[16:17], v[16:17], v[20:21], v[16:17]
	v_mul_f64 v[20:21], v[18:19], v[16:17]
	v_fma_f64 v[14:15], -v[14:15], v[20:21], v[18:19]
	v_div_fmas_f64 v[24:25], v[14:15], v[16:17], v[20:21]
	ds_read_b128 v[14:17], v11
	ds_read_b128 v[18:21], v11 offset:2048
	s_waitcnt lgkmcnt(1)
	v_mul_f64 v[26:27], v[3:4], -v[14:15]
	v_mul_f64 v[3:4], v[3:4], v[16:17]
	v_fma_f64 v[16:17], v[16:17], v[1:2], v[26:27]
	v_fma_f64 v[14:15], v[14:15], v[1:2], v[3:4]
	ds_read_b128 v[1:4], v10 offset:1024
	v_div_fixup_f64 v[22:23], v[24:25], v[22:23], 1.0
	v_mul_f64 v[24:25], v[22:23], v[16:17]
	v_mul_f64 v[26:27], v[22:23], v[14:15]
	ds_read_b128 v[14:17], v10 offset:2048
	v_min_i32_e32 v10, s4, v36
	v_lshlrev_b32_e32 v10, 4, v10
	v_mul_f64 v[22:23], v[24:25], v[7:8]
	v_mul_f64 v[28:29], v[24:25], -v[5:6]
	s_waitcnt lgkmcnt(1)
	v_mul_f64 v[30:31], v[24:25], -v[3:4]
	v_mul_f64 v[32:33], v[24:25], v[1:2]
	s_waitcnt lgkmcnt(0)
	v_mul_f64 v[34:35], v[24:25], v[14:15]
	v_fma_f64 v[5:6], -v[5:6], v[26:27], v[22:23]
	v_fma_f64 v[7:8], -v[7:8], v[26:27], v[28:29]
	v_mul_f64 v[28:29], v[24:25], -v[16:17]
	ds_read_b128 v[22:25], v10 offset:512
	v_fma_f64 v[30:31], v[1:2], v[26:27], v[30:31]
	v_fma_f64 v[32:33], v[3:4], v[26:27], v[32:33]
	ds_read_b128 v[1:4], v13
	v_fma_f64 v[34:35], v[16:17], v[26:27], v[34:35]
	v_fma_f64 v[36:37], v[14:15], v[26:27], v[28:29]
	s_waitcnt lgkmcnt(0)
	v_mul_f64 v[38:39], v[24:25], v[3:4]
	ds_read_b128 v[14:17], v10
	ds_read_b128 v[26:29], v12
	v_add_f64 v[20:21], v[20:21], -v[34:35]
	v_add_f64 v[18:19], v[18:19], -v[36:37]
	v_fma_f64 v[38:39], v[1:2], v[22:23], v[38:39]
	v_mul_f64 v[1:2], v[24:25], -v[1:2]
	v_fma_f64 v[1:2], v[3:4], v[22:23], v[1:2]
	v_mul_f64 v[3:4], v[24:25], v[24:25]
	v_fma_f64 v[3:4], v[22:23], v[22:23], v[3:4]
	v_div_scale_f64 v[22:23], s[4:5], v[3:4], v[3:4], 1.0
	v_rcp_f64_e32 v[24:25], v[22:23]
	v_fma_f64 v[40:41], -v[22:23], v[24:25], 1.0
	v_fma_f64 v[24:25], v[24:25], v[40:41], v[24:25]
	v_fma_f64 v[40:41], -v[22:23], v[24:25], 1.0
	v_fma_f64 v[24:25], v[24:25], v[40:41], v[24:25]
	v_div_scale_f64 v[40:41], vcc, 1.0, v[3:4], 1.0
	v_mul_f64 v[42:43], v[40:41], v[24:25]
	v_fma_f64 v[22:23], -v[22:23], v[42:43], v[40:41]
	s_nop 1
	v_div_fmas_f64 v[22:23], v[22:23], v[24:25], v[42:43]
	v_cmp_gt_u32_e32 vcc, 16, v0
	v_div_fixup_f64 v[3:4], v[22:23], v[3:4], 1.0
	v_mul_f64 v[22:23], v[3:4], v[1:2]
	v_mul_f64 v[24:25], v[3:4], v[38:39]
	s_waitcnt lgkmcnt(1)
	v_mul_f64 v[1:2], v[22:23], -v[16:17]
	v_fma_f64 v[38:39], v[14:15], v[24:25], v[1:2]
	v_mul_f64 v[1:2], v[22:23], v[14:15]
	v_fma_f64 v[16:17], v[16:17], v[24:25], v[1:2]
	ds_read_b128 v[1:4], v10 offset:2048
	s_waitcnt lgkmcnt(0)
	v_mul_f64 v[14:15], v[22:23], -v[3:4]
	v_fma_f64 v[40:41], v[1:2], v[24:25], v[14:15]
	v_mul_f64 v[1:2], v[22:23], v[1:2]
	v_add_f64 v[14:15], v[26:27], -v[30:31]
	v_add_f64 v[26:27], v[28:29], -v[32:33]
	;; [unrolled: 1-line block ×3, first 2 shown]
	v_fma_f64 v[42:43], v[3:4], v[24:25], v[1:2]
	ds_read_b128 v[1:4], v10 offset:1024
	v_add_f64 v[14:15], v[14:15], -v[38:39]
	v_add_f64 v[16:17], v[26:27], -v[16:17]
	s_waitcnt lgkmcnt(0)
	; wave barrier
	v_mul_f64 v[28:29], v[22:23], v[3:4]
	v_mul_f64 v[22:23], v[22:23], -v[1:2]
	v_add_f64 v[20:21], v[20:21], -v[42:43]
	v_fma_f64 v[1:2], -v[1:2], v[24:25], v[28:29]
	v_fma_f64 v[3:4], -v[3:4], v[24:25], v[22:23]
	ds_write_b128 v11, v[5:8]
	ds_write_b128 v13, v[1:4]
	;; [unrolled: 1-line block ×3, first 2 shown]
	ds_write_b128 v11, v[18:21] offset:2048
	s_waitcnt lgkmcnt(0)
	; wave barrier
	s_and_saveexec_b64 s[4:5], vcc
	s_cbranch_execz .LBB87_14
; %bb.9:
	v_or_b32_e32 v5, 16, v0
	v_or_b32_e32 v6, 0x800, v11
	v_cmp_le_i32_e32 vcc, s7, v5
                                        ; implicit-def: $vgpr3_vgpr4
	s_and_saveexec_b64 s[6:7], vcc
	s_xor_b64 s[6:7], exec, s[6:7]
	s_cbranch_execz .LBB87_11
; %bb.10:
	ds_read_b128 v[1:4], v12
	ds_read_b128 v[5:8], v6
	s_waitcnt lgkmcnt(1)
	v_mul_f64 v[12:13], v[3:4], v[3:4]
	v_fma_f64 v[12:13], v[1:2], v[1:2], v[12:13]
	v_div_scale_f64 v[14:15], s[8:9], v[12:13], v[12:13], 1.0
	v_rcp_f64_e32 v[16:17], v[14:15]
	v_fma_f64 v[18:19], -v[14:15], v[16:17], 1.0
	v_fma_f64 v[16:17], v[16:17], v[18:19], v[16:17]
	v_div_scale_f64 v[18:19], vcc, 1.0, v[12:13], 1.0
	v_fma_f64 v[20:21], -v[14:15], v[16:17], 1.0
	v_fma_f64 v[16:17], v[16:17], v[20:21], v[16:17]
	v_mul_f64 v[20:21], v[18:19], v[16:17]
	v_fma_f64 v[14:15], -v[14:15], v[20:21], v[18:19]
	v_div_fmas_f64 v[14:15], v[14:15], v[16:17], v[20:21]
	s_waitcnt lgkmcnt(0)
	v_mul_f64 v[16:17], v[3:4], v[7:8]
	v_mul_f64 v[3:4], v[3:4], -v[5:6]
	v_fma_f64 v[5:6], v[5:6], v[1:2], v[16:17]
	v_fma_f64 v[3:4], v[7:8], v[1:2], v[3:4]
	v_div_fixup_f64 v[12:13], v[14:15], v[12:13], 1.0
	v_mul_f64 v[1:2], v[12:13], v[5:6]
	v_mul_f64 v[3:4], v[12:13], v[3:4]
                                        ; implicit-def: $vgpr12
                                        ; implicit-def: $vgpr13
                                        ; implicit-def: $vgpr6
                                        ; implicit-def: $vgpr5
.LBB87_11:
	s_andn2_saveexec_b64 s[6:7], s[6:7]
	s_cbranch_execz .LBB87_13
; %bb.12:
	ds_read_b128 v[0:3], v12 offset:256
	ds_read_b128 v[13:16], v13
	ds_read_b128 v[17:20], v12
	ds_read_b128 v[21:24], v11 offset:256
	s_waitcnt lgkmcnt(1)
	v_mul_f64 v[7:8], v[19:20], v[0:1]
	s_waitcnt lgkmcnt(0)
	v_mul_f64 v[25:26], v[23:24], v[13:14]
	v_mul_f64 v[27:28], v[19:20], -v[2:3]
	v_mul_f64 v[29:30], v[23:24], -v[15:16]
	v_fma_f64 v[7:8], v[2:3], v[17:18], v[7:8]
	v_fma_f64 v[25:26], v[15:16], v[21:22], v[25:26]
	;; [unrolled: 1-line block ×4, first 2 shown]
	v_add_f64 v[7:8], v[7:8], -v[25:26]
	v_add_f64 v[33:34], v[27:28], -v[29:30]
	v_mul_f64 v[25:26], v[7:8], v[7:8]
	v_fma_f64 v[35:36], v[33:34], v[33:34], v[25:26]
	v_div_scale_f64 v[25:26], s[8:9], v[35:36], v[35:36], 1.0
	v_rcp_f64_e32 v[27:28], v[25:26]
	v_fma_f64 v[29:30], -v[25:26], v[27:28], 1.0
	v_fma_f64 v[27:28], v[27:28], v[29:30], v[27:28]
	v_div_scale_f64 v[29:30], vcc, 1.0, v[35:36], 1.0
	v_fma_f64 v[31:32], -v[25:26], v[27:28], 1.0
	v_fma_f64 v[37:38], v[27:28], v[31:32], v[27:28]
	v_mul_f64 v[39:40], v[29:30], v[37:38]
	v_fma_f64 v[41:42], -v[25:26], v[39:40], v[29:30]
	ds_read_b128 v[25:28], v6 offset:256
	ds_read_b128 v[29:32], v6
	s_waitcnt lgkmcnt(1)
	v_mul_f64 v[43:44], v[19:20], -v[27:28]
	v_mul_f64 v[19:20], v[19:20], v[25:26]
	s_waitcnt lgkmcnt(0)
	v_mul_f64 v[45:46], v[0:1], v[31:32]
	v_div_fmas_f64 v[37:38], v[41:42], v[37:38], v[39:40]
	v_mul_f64 v[39:40], v[27:28], -v[15:16]
	v_mul_f64 v[41:42], v[13:14], v[27:28]
	v_fma_f64 v[43:44], v[25:26], v[17:18], v[43:44]
	v_fma_f64 v[17:18], v[27:28], v[17:18], v[19:20]
	v_mul_f64 v[19:20], v[31:32], -v[2:3]
	v_mul_f64 v[27:28], v[23:24], v[29:30]
	v_mul_f64 v[23:24], v[23:24], -v[31:32]
	v_fma_f64 v[12:13], v[13:14], v[25:26], v[39:40]
	v_fma_f64 v[14:15], v[15:16], v[25:26], v[41:42]
	;; [unrolled: 1-line block ×3, first 2 shown]
	v_fma_f64 v[25:26], v[33:34], 0, -v[7:8]
	v_fma_f64 v[6:7], v[7:8], 0, v[33:34]
	v_fma_f64 v[0:1], v[0:1], v[29:30], v[19:20]
	v_div_fixup_f64 v[35:36], v[37:38], v[35:36], 1.0
	v_fma_f64 v[19:20], v[31:32], v[21:22], v[27:28]
	v_fma_f64 v[21:22], v[29:30], v[21:22], v[23:24]
	v_add_f64 v[2:3], v[2:3], -v[14:15]
	v_add_f64 v[0:1], v[0:1], -v[12:13]
	v_mul_f64 v[14:15], v[25:26], v[35:36]
	v_add_f64 v[16:17], v[17:18], -v[19:20]
	v_add_f64 v[18:19], v[43:44], -v[21:22]
	v_mul_f64 v[6:7], v[6:7], v[35:36]
	v_mul_f64 v[12:13], v[14:15], -v[2:3]
	v_mul_f64 v[20:21], v[14:15], v[0:1]
	v_mul_f64 v[22:23], v[14:15], -v[16:17]
	v_mul_f64 v[24:25], v[14:15], v[18:19]
	v_fma_f64 v[12:13], v[0:1], v[6:7], v[12:13]
	v_fma_f64 v[14:15], v[2:3], v[6:7], v[20:21]
	;; [unrolled: 1-line block ×4, first 2 shown]
	v_mov_b32_e32 v0, v5
	ds_write_b128 v11, v[12:15] offset:1536
.LBB87_13:
	s_or_b64 exec, exec, s[6:7]
	v_lshlrev_b32_e32 v0, 4, v0
	ds_write_b128 v0, v[1:4] offset:1536
.LBB87_14:
	s_or_b64 exec, exec, s[4:5]
	s_waitcnt lgkmcnt(0)
	; wave barrier
	s_and_saveexec_b64 s[4:5], s[0:1]
	s_cbranch_execz .LBB87_16
; %bb.15:
	v_mov_b32_e32 v10, 0
	ds_read2_b64 v[0:3], v11 offset0:192 offset1:193
	v_lshlrev_b64 v[4:5], 4, v[9:10]
	v_mov_b32_e32 v6, s3
	v_add_co_u32_e32 v4, vcc, s2, v4
	v_addc_co_u32_e32 v5, vcc, v6, v5, vcc
	s_waitcnt lgkmcnt(0)
	global_store_dwordx4 v[4:5], v[0:3], off
.LBB87_16:
	s_endpgm
	.section	.rodata,"a",@progbits
	.p2align	6, 0x0
	.amdhsa_kernel _ZN9rocsparseL30gtsv_nopivot_pcr_shared_kernelILj32E21rocsparse_complex_numIdEEEviiiPKT0_S5_S5_PS3_
		.amdhsa_group_segment_fixed_size 2560
		.amdhsa_private_segment_fixed_size 0
		.amdhsa_kernarg_size 48
		.amdhsa_user_sgpr_count 6
		.amdhsa_user_sgpr_private_segment_buffer 1
		.amdhsa_user_sgpr_dispatch_ptr 0
		.amdhsa_user_sgpr_queue_ptr 0
		.amdhsa_user_sgpr_kernarg_segment_ptr 1
		.amdhsa_user_sgpr_dispatch_id 0
		.amdhsa_user_sgpr_flat_scratch_init 0
		.amdhsa_user_sgpr_private_segment_size 0
		.amdhsa_uses_dynamic_stack 0
		.amdhsa_system_sgpr_private_segment_wavefront_offset 0
		.amdhsa_system_sgpr_workgroup_id_x 1
		.amdhsa_system_sgpr_workgroup_id_y 0
		.amdhsa_system_sgpr_workgroup_id_z 0
		.amdhsa_system_sgpr_workgroup_info 0
		.amdhsa_system_vgpr_workitem_id 0
		.amdhsa_next_free_vgpr 47
		.amdhsa_next_free_sgpr 77
		.amdhsa_reserve_vcc 1
		.amdhsa_reserve_flat_scratch 0
		.amdhsa_float_round_mode_32 0
		.amdhsa_float_round_mode_16_64 0
		.amdhsa_float_denorm_mode_32 3
		.amdhsa_float_denorm_mode_16_64 3
		.amdhsa_dx10_clamp 1
		.amdhsa_ieee_mode 1
		.amdhsa_fp16_overflow 0
		.amdhsa_exception_fp_ieee_invalid_op 0
		.amdhsa_exception_fp_denorm_src 0
		.amdhsa_exception_fp_ieee_div_zero 0
		.amdhsa_exception_fp_ieee_overflow 0
		.amdhsa_exception_fp_ieee_underflow 0
		.amdhsa_exception_fp_ieee_inexact 0
		.amdhsa_exception_int_div_zero 0
	.end_amdhsa_kernel
	.section	.text._ZN9rocsparseL30gtsv_nopivot_pcr_shared_kernelILj32E21rocsparse_complex_numIdEEEviiiPKT0_S5_S5_PS3_,"axG",@progbits,_ZN9rocsparseL30gtsv_nopivot_pcr_shared_kernelILj32E21rocsparse_complex_numIdEEEviiiPKT0_S5_S5_PS3_,comdat
.Lfunc_end87:
	.size	_ZN9rocsparseL30gtsv_nopivot_pcr_shared_kernelILj32E21rocsparse_complex_numIdEEEviiiPKT0_S5_S5_PS3_, .Lfunc_end87-_ZN9rocsparseL30gtsv_nopivot_pcr_shared_kernelILj32E21rocsparse_complex_numIdEEEviiiPKT0_S5_S5_PS3_
                                        ; -- End function
	.set _ZN9rocsparseL30gtsv_nopivot_pcr_shared_kernelILj32E21rocsparse_complex_numIdEEEviiiPKT0_S5_S5_PS3_.num_vgpr, 47
	.set _ZN9rocsparseL30gtsv_nopivot_pcr_shared_kernelILj32E21rocsparse_complex_numIdEEEviiiPKT0_S5_S5_PS3_.num_agpr, 0
	.set _ZN9rocsparseL30gtsv_nopivot_pcr_shared_kernelILj32E21rocsparse_complex_numIdEEEviiiPKT0_S5_S5_PS3_.numbered_sgpr, 12
	.set _ZN9rocsparseL30gtsv_nopivot_pcr_shared_kernelILj32E21rocsparse_complex_numIdEEEviiiPKT0_S5_S5_PS3_.num_named_barrier, 0
	.set _ZN9rocsparseL30gtsv_nopivot_pcr_shared_kernelILj32E21rocsparse_complex_numIdEEEviiiPKT0_S5_S5_PS3_.private_seg_size, 0
	.set _ZN9rocsparseL30gtsv_nopivot_pcr_shared_kernelILj32E21rocsparse_complex_numIdEEEviiiPKT0_S5_S5_PS3_.uses_vcc, 1
	.set _ZN9rocsparseL30gtsv_nopivot_pcr_shared_kernelILj32E21rocsparse_complex_numIdEEEviiiPKT0_S5_S5_PS3_.uses_flat_scratch, 0
	.set _ZN9rocsparseL30gtsv_nopivot_pcr_shared_kernelILj32E21rocsparse_complex_numIdEEEviiiPKT0_S5_S5_PS3_.has_dyn_sized_stack, 0
	.set _ZN9rocsparseL30gtsv_nopivot_pcr_shared_kernelILj32E21rocsparse_complex_numIdEEEviiiPKT0_S5_S5_PS3_.has_recursion, 0
	.set _ZN9rocsparseL30gtsv_nopivot_pcr_shared_kernelILj32E21rocsparse_complex_numIdEEEviiiPKT0_S5_S5_PS3_.has_indirect_call, 0
	.section	.AMDGPU.csdata,"",@progbits
; Kernel info:
; codeLenInByte = 4120
; TotalNumSgprs: 16
; NumVgprs: 47
; ScratchSize: 0
; MemoryBound: 1
; FloatMode: 240
; IeeeMode: 1
; LDSByteSize: 2560 bytes/workgroup (compile time only)
; SGPRBlocks: 10
; VGPRBlocks: 11
; NumSGPRsForWavesPerEU: 81
; NumVGPRsForWavesPerEU: 47
; Occupancy: 5
; WaveLimiterHint : 0
; COMPUTE_PGM_RSRC2:SCRATCH_EN: 0
; COMPUTE_PGM_RSRC2:USER_SGPR: 6
; COMPUTE_PGM_RSRC2:TRAP_HANDLER: 0
; COMPUTE_PGM_RSRC2:TGID_X_EN: 1
; COMPUTE_PGM_RSRC2:TGID_Y_EN: 0
; COMPUTE_PGM_RSRC2:TGID_Z_EN: 0
; COMPUTE_PGM_RSRC2:TIDIG_COMP_CNT: 0
	.section	.text._ZN9rocsparseL30gtsv_nopivot_pcr_shared_kernelILj64E21rocsparse_complex_numIdEEEviiiPKT0_S5_S5_PS3_,"axG",@progbits,_ZN9rocsparseL30gtsv_nopivot_pcr_shared_kernelILj64E21rocsparse_complex_numIdEEEviiiPKT0_S5_S5_PS3_,comdat
	.globl	_ZN9rocsparseL30gtsv_nopivot_pcr_shared_kernelILj64E21rocsparse_complex_numIdEEEviiiPKT0_S5_S5_PS3_ ; -- Begin function _ZN9rocsparseL30gtsv_nopivot_pcr_shared_kernelILj64E21rocsparse_complex_numIdEEEviiiPKT0_S5_S5_PS3_
	.p2align	8
	.type	_ZN9rocsparseL30gtsv_nopivot_pcr_shared_kernelILj64E21rocsparse_complex_numIdEEEviiiPKT0_S5_S5_PS3_,@function
_ZN9rocsparseL30gtsv_nopivot_pcr_shared_kernelILj64E21rocsparse_complex_numIdEEEviiiPKT0_S5_S5_PS3_: ; @_ZN9rocsparseL30gtsv_nopivot_pcr_shared_kernelILj64E21rocsparse_complex_numIdEEEviiiPKT0_S5_S5_PS3_
; %bb.0:
	s_load_dword s7, s[4:5], 0x0
	v_mov_b32_e32 v1, 0
	v_mov_b32_e32 v5, 0
	;; [unrolled: 1-line block ×5, first 2 shown]
	s_waitcnt lgkmcnt(0)
	v_cmp_gt_i32_e64 s[0:1], s7, v0
	v_mov_b32_e32 v8, 0
	v_lshlrev_b32_e32 v11, 4, v0
	s_and_saveexec_b64 s[2:3], s[0:1]
	s_cbranch_execz .LBB88_2
; %bb.1:
	s_load_dwordx2 s[8:9], s[4:5], 0x10
	s_waitcnt lgkmcnt(0)
	global_load_dwordx4 v[5:8], v11, s[8:9]
.LBB88_2:
	s_or_b64 exec, exec, s[2:3]
	v_mov_b32_e32 v3, 0
	v_mov_b32_e32 v4, 0
	s_waitcnt vmcnt(0)
	ds_write_b128 v11, v[5:8]
	s_and_saveexec_b64 s[2:3], s[0:1]
	s_cbranch_execz .LBB88_4
; %bb.3:
	s_load_dwordx2 s[8:9], s[4:5], 0x18
	s_waitcnt lgkmcnt(0)
	global_load_dwordx4 v[1:4], v11, s[8:9]
.LBB88_4:
	s_or_b64 exec, exec, s[2:3]
	s_load_dwordx2 s[8:9], s[4:5], 0x28
	v_mov_b32_e32 v5, 0
	v_mov_b32_e32 v7, 0
	;; [unrolled: 1-line block ×6, first 2 shown]
	s_waitcnt vmcnt(0)
	ds_write_b128 v11, v[1:4] offset:1024
	s_and_saveexec_b64 s[2:3], s[0:1]
	s_cbranch_execz .LBB88_6
; %bb.5:
	s_load_dwordx2 s[10:11], s[4:5], 0x20
	s_waitcnt lgkmcnt(0)
	global_load_dwordx4 v[7:10], v11, s[10:11]
.LBB88_6:
	s_or_b64 exec, exec, s[2:3]
	s_load_dword s2, s[4:5], 0x8
	s_waitcnt vmcnt(0)
	ds_write_b128 v11, v[7:10] offset:2048
	v_mov_b32_e32 v7, 0
	v_or_b32_e32 v13, 0x400, v11
	v_or_b32_e32 v12, 0x800, v11
	s_waitcnt lgkmcnt(0)
	s_mul_i32 s2, s2, s6
	v_mov_b32_e32 v8, 0
	v_add_u32_e32 v9, s2, v0
	s_and_saveexec_b64 s[2:3], s[0:1]
	s_cbranch_execz .LBB88_8
; %bb.7:
	v_mov_b32_e32 v10, 0
	v_lshlrev_b64 v[1:2], 4, v[9:10]
	v_mov_b32_e32 v3, s9
	v_add_co_u32_e32 v1, vcc, s8, v1
	v_addc_co_u32_e32 v2, vcc, v3, v2, vcc
	global_load_dwordx4 v[5:8], v[1:2], off
.LBB88_8:
	s_or_b64 exec, exec, s[2:3]
	v_sub_u32_e64 v1, v0, 1 clamp
	v_lshlrev_b32_e32 v10, 4, v1
	s_waitcnt vmcnt(0)
	ds_write_b128 v11, v[5:8] offset:4096
	s_waitcnt lgkmcnt(0)
	; wave barrier
	ds_read_b128 v[1:4], v10 offset:1024
	s_add_i32 s4, s7, -1
	v_add_u32_e32 v5, 1, v0
	v_min_i32_e32 v14, s4, v5
	ds_read_b128 v[5:8], v10
	s_waitcnt lgkmcnt(1)
	v_mul_f64 v[22:23], v[3:4], v[3:4]
	v_lshlrev_b32_e32 v50, 4, v14
	ds_read_b128 v[14:17], v50 offset:1024
	ds_read_b128 v[18:21], v50
	s_waitcnt lgkmcnt(1)
	v_mul_f64 v[24:25], v[16:17], v[16:17]
	v_fma_f64 v[38:39], v[1:2], v[1:2], v[22:23]
	v_fma_f64 v[40:41], v[14:15], v[14:15], v[24:25]
	v_div_scale_f64 v[22:23], s[2:3], v[38:39], v[38:39], 1.0
	v_div_scale_f64 v[24:25], s[2:3], v[40:41], v[40:41], 1.0
	v_div_scale_f64 v[34:35], s[2:3], 1.0, v[40:41], 1.0
	v_rcp_f64_e32 v[26:27], v[22:23]
	v_rcp_f64_e32 v[28:29], v[24:25]
	v_fma_f64 v[30:31], -v[22:23], v[26:27], 1.0
	v_fma_f64 v[32:33], -v[24:25], v[28:29], 1.0
	v_fma_f64 v[26:27], v[26:27], v[30:31], v[26:27]
	v_div_scale_f64 v[30:31], vcc, 1.0, v[38:39], 1.0
	v_fma_f64 v[28:29], v[28:29], v[32:33], v[28:29]
	v_fma_f64 v[32:33], -v[22:23], v[26:27], 1.0
	v_fma_f64 v[36:37], -v[24:25], v[28:29], 1.0
	v_fma_f64 v[26:27], v[26:27], v[32:33], v[26:27]
	v_fma_f64 v[32:33], v[28:29], v[36:37], v[28:29]
	v_mul_f64 v[28:29], v[30:31], v[26:27]
	v_mul_f64 v[36:37], v[34:35], v[32:33]
	v_fma_f64 v[22:23], -v[22:23], v[28:29], v[30:31]
	v_fma_f64 v[30:31], -v[24:25], v[36:37], v[34:35]
	v_div_fmas_f64 v[42:43], v[22:23], v[26:27], v[28:29]
	ds_read_b128 v[22:25], v11
	ds_read_b128 v[26:29], v13
	s_mov_b64 vcc, s[2:3]
	s_waitcnt lgkmcnt(1)
	v_mul_f64 v[46:47], v[3:4], -v[22:23]
	v_div_fmas_f64 v[44:45], v[30:31], v[32:33], v[36:37]
	ds_read_b128 v[30:33], v12
	ds_read_b128 v[34:37], v11 offset:4096
	v_mul_f64 v[3:4], v[3:4], v[24:25]
	s_waitcnt lgkmcnt(1)
	v_mul_f64 v[48:49], v[16:17], -v[30:31]
	v_mul_f64 v[16:17], v[16:17], v[32:33]
	v_fma_f64 v[24:25], v[24:25], v[1:2], v[46:47]
	v_div_fixup_f64 v[38:39], v[42:43], v[38:39], 1.0
	v_fma_f64 v[42:43], v[22:23], v[1:2], v[3:4]
	v_fma_f64 v[46:47], v[32:33], v[14:15], v[48:49]
	v_div_fixup_f64 v[40:41], v[44:45], v[40:41], 1.0
	v_fma_f64 v[44:45], v[30:31], v[14:15], v[16:17]
	v_mul_f64 v[48:49], v[38:39], v[24:25]
	ds_read_b128 v[1:4], v10 offset:2048
	ds_read_b128 v[14:17], v10 offset:4096
	;; [unrolled: 1-line block ×4, first 2 shown]
	v_mul_f64 v[38:39], v[38:39], v[42:43]
	v_sub_u32_e64 v10, v0, 2 clamp
	v_lshlrev_b32_e32 v10, 4, v10
	s_waitcnt lgkmcnt(0)
	v_mul_f64 v[42:43], v[40:41], v[46:47]
	v_mul_f64 v[40:41], v[40:41], v[44:45]
	v_mul_f64 v[44:45], v[48:49], -v[3:4]
	v_mul_f64 v[46:47], v[48:49], v[1:2]
	v_mul_f64 v[50:51], v[48:49], -v[16:17]
	v_mul_f64 v[52:53], v[48:49], v[14:15]
	v_mul_f64 v[54:55], v[48:49], v[7:8]
	v_mul_f64 v[48:49], v[48:49], -v[5:6]
	v_mul_f64 v[56:57], v[42:43], -v[20:21]
	v_mul_f64 v[58:59], v[42:43], v[18:19]
	v_fma_f64 v[1:2], v[1:2], v[38:39], v[44:45]
	v_fma_f64 v[3:4], v[3:4], v[38:39], v[46:47]
	v_mul_f64 v[60:61], v[42:43], -v[24:25]
	v_mul_f64 v[62:63], v[42:43], v[22:23]
	v_fma_f64 v[14:15], v[14:15], v[38:39], v[50:51]
	v_fma_f64 v[16:17], v[16:17], v[38:39], v[52:53]
	v_mul_f64 v[64:65], v[42:43], v[32:33]
	v_mul_f64 v[42:43], v[42:43], -v[30:31]
	v_fma_f64 v[18:19], v[18:19], v[40:41], v[56:57]
	v_fma_f64 v[20:21], v[20:21], v[40:41], v[58:59]
	v_add_f64 v[26:27], v[26:27], -v[1:2]
	v_add_f64 v[28:29], v[28:29], -v[3:4]
	v_fma_f64 v[22:23], v[22:23], v[40:41], v[60:61]
	v_fma_f64 v[24:25], v[24:25], v[40:41], v[62:63]
	v_add_f64 v[34:35], v[34:35], -v[14:15]
	v_add_f64 v[36:37], v[36:37], -v[16:17]
	v_fma_f64 v[1:2], -v[5:6], v[38:39], v[54:55]
	v_fma_f64 v[3:4], -v[7:8], v[38:39], v[48:49]
	;; [unrolled: 1-line block ×4, first 2 shown]
	v_add_f64 v[14:15], v[26:27], -v[18:19]
	v_add_f64 v[16:17], v[28:29], -v[20:21]
	;; [unrolled: 1-line block ×4, first 2 shown]
	; wave barrier
	ds_write_b128 v11, v[1:4]
	ds_write_b128 v12, v[5:8]
	;; [unrolled: 1-line block ×3, first 2 shown]
	ds_write_b128 v11, v[18:21] offset:4096
	s_waitcnt lgkmcnt(0)
	; wave barrier
	ds_read_b128 v[1:4], v10 offset:1024
	v_add_u32_e32 v5, 2, v0
	v_min_i32_e32 v5, s4, v5
	v_lshlrev_b32_e32 v50, 4, v5
	ds_read_b128 v[5:8], v10
	s_waitcnt lgkmcnt(1)
	v_mul_f64 v[22:23], v[3:4], v[3:4]
	ds_read_b128 v[14:17], v50 offset:1024
	ds_read_b128 v[18:21], v50
	s_waitcnt lgkmcnt(1)
	v_mul_f64 v[24:25], v[16:17], v[16:17]
	v_fma_f64 v[38:39], v[1:2], v[1:2], v[22:23]
	v_fma_f64 v[40:41], v[14:15], v[14:15], v[24:25]
	v_div_scale_f64 v[22:23], s[2:3], v[38:39], v[38:39], 1.0
	v_div_scale_f64 v[24:25], s[2:3], v[40:41], v[40:41], 1.0
	v_div_scale_f64 v[34:35], s[2:3], 1.0, v[40:41], 1.0
	v_rcp_f64_e32 v[26:27], v[22:23]
	v_rcp_f64_e32 v[28:29], v[24:25]
	v_fma_f64 v[30:31], -v[22:23], v[26:27], 1.0
	v_fma_f64 v[32:33], -v[24:25], v[28:29], 1.0
	v_fma_f64 v[26:27], v[26:27], v[30:31], v[26:27]
	v_div_scale_f64 v[30:31], vcc, 1.0, v[38:39], 1.0
	v_fma_f64 v[28:29], v[28:29], v[32:33], v[28:29]
	v_fma_f64 v[32:33], -v[22:23], v[26:27], 1.0
	v_fma_f64 v[36:37], -v[24:25], v[28:29], 1.0
	v_fma_f64 v[26:27], v[26:27], v[32:33], v[26:27]
	v_fma_f64 v[32:33], v[28:29], v[36:37], v[28:29]
	v_mul_f64 v[28:29], v[30:31], v[26:27]
	v_mul_f64 v[36:37], v[34:35], v[32:33]
	v_fma_f64 v[22:23], -v[22:23], v[28:29], v[30:31]
	v_fma_f64 v[30:31], -v[24:25], v[36:37], v[34:35]
	v_div_fmas_f64 v[42:43], v[22:23], v[26:27], v[28:29]
	ds_read_b128 v[22:25], v11
	ds_read_b128 v[26:29], v13
	s_mov_b64 vcc, s[2:3]
	v_div_fmas_f64 v[44:45], v[30:31], v[32:33], v[36:37]
	s_waitcnt lgkmcnt(1)
	v_mul_f64 v[46:47], v[3:4], -v[22:23]
	ds_read_b128 v[30:33], v12
	ds_read_b128 v[34:37], v11 offset:4096
	v_mul_f64 v[3:4], v[3:4], v[24:25]
	s_waitcnt lgkmcnt(1)
	v_mul_f64 v[48:49], v[16:17], -v[30:31]
	v_mul_f64 v[16:17], v[16:17], v[32:33]
	v_fma_f64 v[24:25], v[24:25], v[1:2], v[46:47]
	v_div_fixup_f64 v[38:39], v[42:43], v[38:39], 1.0
	v_fma_f64 v[42:43], v[22:23], v[1:2], v[3:4]
	v_fma_f64 v[46:47], v[32:33], v[14:15], v[48:49]
	v_div_fixup_f64 v[40:41], v[44:45], v[40:41], 1.0
	v_fma_f64 v[44:45], v[30:31], v[14:15], v[16:17]
	v_mul_f64 v[48:49], v[38:39], v[24:25]
	ds_read_b128 v[1:4], v10 offset:2048
	ds_read_b128 v[14:17], v10 offset:4096
	;; [unrolled: 1-line block ×4, first 2 shown]
	v_mul_f64 v[38:39], v[38:39], v[42:43]
	v_sub_u32_e64 v10, v0, 4 clamp
	v_lshlrev_b32_e32 v10, 4, v10
	v_mul_f64 v[42:43], v[40:41], v[46:47]
	v_mul_f64 v[40:41], v[40:41], v[44:45]
	s_waitcnt lgkmcnt(0)
	v_mul_f64 v[44:45], v[48:49], -v[3:4]
	v_mul_f64 v[46:47], v[48:49], v[1:2]
	v_mul_f64 v[50:51], v[48:49], -v[16:17]
	v_mul_f64 v[52:53], v[48:49], v[14:15]
	v_mul_f64 v[54:55], v[48:49], v[7:8]
	v_mul_f64 v[56:57], v[42:43], -v[20:21]
	v_mul_f64 v[58:59], v[42:43], v[18:19]
	v_mul_f64 v[60:61], v[42:43], -v[24:25]
	v_fma_f64 v[1:2], v[1:2], v[38:39], v[44:45]
	v_fma_f64 v[3:4], v[3:4], v[38:39], v[46:47]
	v_mul_f64 v[62:63], v[42:43], v[22:23]
	v_fma_f64 v[14:15], v[14:15], v[38:39], v[50:51]
	v_fma_f64 v[16:17], v[16:17], v[38:39], v[52:53]
	v_mul_f64 v[48:49], v[48:49], -v[5:6]
	v_mul_f64 v[64:65], v[42:43], v[32:33]
	v_mul_f64 v[42:43], v[42:43], -v[30:31]
	v_fma_f64 v[18:19], v[18:19], v[40:41], v[56:57]
	v_fma_f64 v[20:21], v[20:21], v[40:41], v[58:59]
	v_add_f64 v[26:27], v[26:27], -v[1:2]
	v_add_f64 v[28:29], v[28:29], -v[3:4]
	v_fma_f64 v[22:23], v[22:23], v[40:41], v[60:61]
	v_fma_f64 v[24:25], v[24:25], v[40:41], v[62:63]
	v_add_f64 v[34:35], v[34:35], -v[14:15]
	v_add_f64 v[36:37], v[36:37], -v[16:17]
	v_fma_f64 v[1:2], -v[5:6], v[38:39], v[54:55]
	v_fma_f64 v[3:4], -v[7:8], v[38:39], v[48:49]
	;; [unrolled: 1-line block ×4, first 2 shown]
	v_add_f64 v[14:15], v[26:27], -v[18:19]
	v_add_f64 v[16:17], v[28:29], -v[20:21]
	;; [unrolled: 1-line block ×4, first 2 shown]
	; wave barrier
	ds_write_b128 v11, v[1:4]
	ds_write_b128 v12, v[5:8]
	ds_write_b128 v13, v[14:17]
	ds_write_b128 v11, v[18:21] offset:4096
	s_waitcnt lgkmcnt(0)
	; wave barrier
	ds_read_b128 v[1:4], v10 offset:1024
	v_add_u32_e32 v5, 4, v0
	v_min_i32_e32 v5, s4, v5
	v_lshlrev_b32_e32 v50, 4, v5
	ds_read_b128 v[5:8], v10
	s_waitcnt lgkmcnt(1)
	v_mul_f64 v[22:23], v[3:4], v[3:4]
	ds_read_b128 v[14:17], v50 offset:1024
	ds_read_b128 v[18:21], v50
	s_waitcnt lgkmcnt(1)
	v_mul_f64 v[24:25], v[16:17], v[16:17]
	v_fma_f64 v[38:39], v[1:2], v[1:2], v[22:23]
	v_fma_f64 v[40:41], v[14:15], v[14:15], v[24:25]
	v_div_scale_f64 v[22:23], s[2:3], v[38:39], v[38:39], 1.0
	v_div_scale_f64 v[24:25], s[2:3], v[40:41], v[40:41], 1.0
	v_div_scale_f64 v[34:35], s[2:3], 1.0, v[40:41], 1.0
	v_rcp_f64_e32 v[26:27], v[22:23]
	v_rcp_f64_e32 v[28:29], v[24:25]
	v_fma_f64 v[30:31], -v[22:23], v[26:27], 1.0
	v_fma_f64 v[32:33], -v[24:25], v[28:29], 1.0
	v_fma_f64 v[26:27], v[26:27], v[30:31], v[26:27]
	v_div_scale_f64 v[30:31], vcc, 1.0, v[38:39], 1.0
	v_fma_f64 v[28:29], v[28:29], v[32:33], v[28:29]
	v_fma_f64 v[32:33], -v[22:23], v[26:27], 1.0
	v_fma_f64 v[36:37], -v[24:25], v[28:29], 1.0
	v_fma_f64 v[26:27], v[26:27], v[32:33], v[26:27]
	v_fma_f64 v[32:33], v[28:29], v[36:37], v[28:29]
	v_mul_f64 v[28:29], v[30:31], v[26:27]
	v_mul_f64 v[36:37], v[34:35], v[32:33]
	v_fma_f64 v[22:23], -v[22:23], v[28:29], v[30:31]
	v_fma_f64 v[30:31], -v[24:25], v[36:37], v[34:35]
	v_div_fmas_f64 v[42:43], v[22:23], v[26:27], v[28:29]
	ds_read_b128 v[22:25], v11
	ds_read_b128 v[26:29], v13
	s_mov_b64 vcc, s[2:3]
	v_div_fmas_f64 v[44:45], v[30:31], v[32:33], v[36:37]
	s_waitcnt lgkmcnt(1)
	v_mul_f64 v[46:47], v[3:4], -v[22:23]
	ds_read_b128 v[30:33], v12
	ds_read_b128 v[34:37], v11 offset:4096
	v_mul_f64 v[3:4], v[3:4], v[24:25]
	s_waitcnt lgkmcnt(1)
	v_mul_f64 v[48:49], v[16:17], -v[30:31]
	v_mul_f64 v[16:17], v[16:17], v[32:33]
	v_fma_f64 v[24:25], v[24:25], v[1:2], v[46:47]
	v_div_fixup_f64 v[38:39], v[42:43], v[38:39], 1.0
	v_fma_f64 v[42:43], v[22:23], v[1:2], v[3:4]
	v_fma_f64 v[46:47], v[32:33], v[14:15], v[48:49]
	v_div_fixup_f64 v[40:41], v[44:45], v[40:41], 1.0
	v_fma_f64 v[44:45], v[30:31], v[14:15], v[16:17]
	v_mul_f64 v[48:49], v[38:39], v[24:25]
	ds_read_b128 v[1:4], v10 offset:2048
	ds_read_b128 v[14:17], v10 offset:4096
	;; [unrolled: 1-line block ×4, first 2 shown]
	v_mul_f64 v[38:39], v[38:39], v[42:43]
	v_sub_u32_e64 v10, v0, 8 clamp
	v_lshlrev_b32_e32 v10, 4, v10
	v_mul_f64 v[42:43], v[40:41], v[46:47]
	v_mul_f64 v[40:41], v[40:41], v[44:45]
	s_waitcnt lgkmcnt(0)
	v_mul_f64 v[44:45], v[48:49], -v[3:4]
	v_mul_f64 v[46:47], v[48:49], v[1:2]
	v_mul_f64 v[50:51], v[48:49], -v[16:17]
	v_mul_f64 v[52:53], v[48:49], v[14:15]
	v_mul_f64 v[54:55], v[48:49], v[7:8]
	v_mul_f64 v[56:57], v[42:43], -v[20:21]
	v_mul_f64 v[58:59], v[42:43], v[18:19]
	v_mul_f64 v[60:61], v[42:43], -v[24:25]
	v_fma_f64 v[1:2], v[1:2], v[38:39], v[44:45]
	v_fma_f64 v[3:4], v[3:4], v[38:39], v[46:47]
	v_mul_f64 v[62:63], v[42:43], v[22:23]
	v_fma_f64 v[14:15], v[14:15], v[38:39], v[50:51]
	v_fma_f64 v[16:17], v[16:17], v[38:39], v[52:53]
	v_mul_f64 v[48:49], v[48:49], -v[5:6]
	v_mul_f64 v[64:65], v[42:43], v[32:33]
	v_mul_f64 v[42:43], v[42:43], -v[30:31]
	v_fma_f64 v[18:19], v[18:19], v[40:41], v[56:57]
	v_fma_f64 v[20:21], v[20:21], v[40:41], v[58:59]
	v_add_f64 v[26:27], v[26:27], -v[1:2]
	v_add_f64 v[28:29], v[28:29], -v[3:4]
	v_fma_f64 v[22:23], v[22:23], v[40:41], v[60:61]
	v_fma_f64 v[24:25], v[24:25], v[40:41], v[62:63]
	v_add_f64 v[34:35], v[34:35], -v[14:15]
	v_add_f64 v[36:37], v[36:37], -v[16:17]
	v_fma_f64 v[1:2], -v[5:6], v[38:39], v[54:55]
	v_fma_f64 v[3:4], -v[7:8], v[38:39], v[48:49]
	;; [unrolled: 1-line block ×4, first 2 shown]
	v_add_f64 v[14:15], v[26:27], -v[18:19]
	v_add_f64 v[16:17], v[28:29], -v[20:21]
	;; [unrolled: 1-line block ×4, first 2 shown]
	; wave barrier
	ds_write_b128 v11, v[1:4]
	ds_write_b128 v12, v[5:8]
	;; [unrolled: 1-line block ×3, first 2 shown]
	ds_write_b128 v11, v[18:21] offset:4096
	s_waitcnt lgkmcnt(0)
	; wave barrier
	ds_read_b128 v[1:4], v10 offset:1024
	v_add_u32_e32 v5, 8, v0
	v_min_i32_e32 v5, s4, v5
	v_lshlrev_b32_e32 v50, 4, v5
	ds_read_b128 v[5:8], v10
	s_waitcnt lgkmcnt(1)
	v_mul_f64 v[22:23], v[3:4], v[3:4]
	ds_read_b128 v[14:17], v50 offset:1024
	ds_read_b128 v[18:21], v50
	s_waitcnt lgkmcnt(1)
	v_mul_f64 v[24:25], v[16:17], v[16:17]
	v_fma_f64 v[38:39], v[1:2], v[1:2], v[22:23]
	v_fma_f64 v[40:41], v[14:15], v[14:15], v[24:25]
	v_div_scale_f64 v[22:23], s[2:3], v[38:39], v[38:39], 1.0
	v_div_scale_f64 v[24:25], s[2:3], v[40:41], v[40:41], 1.0
	v_div_scale_f64 v[34:35], s[2:3], 1.0, v[40:41], 1.0
	v_rcp_f64_e32 v[26:27], v[22:23]
	v_rcp_f64_e32 v[28:29], v[24:25]
	v_fma_f64 v[30:31], -v[22:23], v[26:27], 1.0
	v_fma_f64 v[32:33], -v[24:25], v[28:29], 1.0
	v_fma_f64 v[26:27], v[26:27], v[30:31], v[26:27]
	v_div_scale_f64 v[30:31], vcc, 1.0, v[38:39], 1.0
	v_fma_f64 v[28:29], v[28:29], v[32:33], v[28:29]
	v_fma_f64 v[32:33], -v[22:23], v[26:27], 1.0
	v_fma_f64 v[36:37], -v[24:25], v[28:29], 1.0
	v_fma_f64 v[26:27], v[26:27], v[32:33], v[26:27]
	v_fma_f64 v[32:33], v[28:29], v[36:37], v[28:29]
	v_mul_f64 v[28:29], v[30:31], v[26:27]
	v_mul_f64 v[36:37], v[34:35], v[32:33]
	v_fma_f64 v[22:23], -v[22:23], v[28:29], v[30:31]
	v_fma_f64 v[30:31], -v[24:25], v[36:37], v[34:35]
	v_div_fmas_f64 v[42:43], v[22:23], v[26:27], v[28:29]
	ds_read_b128 v[22:25], v11
	ds_read_b128 v[26:29], v13
	s_mov_b64 vcc, s[2:3]
	v_div_fmas_f64 v[44:45], v[30:31], v[32:33], v[36:37]
	s_waitcnt lgkmcnt(1)
	v_mul_f64 v[46:47], v[3:4], -v[22:23]
	ds_read_b128 v[30:33], v12
	ds_read_b128 v[34:37], v11 offset:4096
	v_mul_f64 v[3:4], v[3:4], v[24:25]
	s_waitcnt lgkmcnt(1)
	v_mul_f64 v[48:49], v[16:17], -v[30:31]
	v_mul_f64 v[16:17], v[16:17], v[32:33]
	v_fma_f64 v[24:25], v[24:25], v[1:2], v[46:47]
	v_div_fixup_f64 v[38:39], v[42:43], v[38:39], 1.0
	v_fma_f64 v[42:43], v[22:23], v[1:2], v[3:4]
	v_fma_f64 v[46:47], v[32:33], v[14:15], v[48:49]
	v_div_fixup_f64 v[40:41], v[44:45], v[40:41], 1.0
	v_fma_f64 v[44:45], v[30:31], v[14:15], v[16:17]
	v_mul_f64 v[48:49], v[38:39], v[24:25]
	ds_read_b128 v[1:4], v10 offset:2048
	ds_read_b128 v[14:17], v10 offset:4096
	;; [unrolled: 1-line block ×4, first 2 shown]
	v_mul_f64 v[38:39], v[38:39], v[42:43]
	v_sub_u32_e64 v10, v0, 16 clamp
	v_lshlrev_b32_e32 v10, 4, v10
	v_mul_f64 v[42:43], v[40:41], v[46:47]
	v_mul_f64 v[40:41], v[40:41], v[44:45]
	s_waitcnt lgkmcnt(0)
	v_mul_f64 v[44:45], v[48:49], -v[3:4]
	v_mul_f64 v[46:47], v[48:49], v[1:2]
	v_mul_f64 v[50:51], v[48:49], -v[16:17]
	v_mul_f64 v[52:53], v[48:49], v[14:15]
	v_mul_f64 v[54:55], v[48:49], v[7:8]
	v_mul_f64 v[56:57], v[42:43], -v[20:21]
	v_mul_f64 v[58:59], v[42:43], v[18:19]
	v_mul_f64 v[60:61], v[42:43], -v[24:25]
	v_fma_f64 v[1:2], v[1:2], v[38:39], v[44:45]
	v_fma_f64 v[3:4], v[3:4], v[38:39], v[46:47]
	v_mul_f64 v[62:63], v[42:43], v[22:23]
	v_fma_f64 v[14:15], v[14:15], v[38:39], v[50:51]
	v_fma_f64 v[16:17], v[16:17], v[38:39], v[52:53]
	v_mul_f64 v[48:49], v[48:49], -v[5:6]
	v_mul_f64 v[64:65], v[42:43], v[32:33]
	v_mul_f64 v[42:43], v[42:43], -v[30:31]
	v_fma_f64 v[18:19], v[18:19], v[40:41], v[56:57]
	v_fma_f64 v[20:21], v[20:21], v[40:41], v[58:59]
	v_add_f64 v[26:27], v[26:27], -v[1:2]
	v_add_f64 v[28:29], v[28:29], -v[3:4]
	v_fma_f64 v[22:23], v[22:23], v[40:41], v[60:61]
	v_fma_f64 v[24:25], v[24:25], v[40:41], v[62:63]
	v_add_f64 v[34:35], v[34:35], -v[14:15]
	v_add_f64 v[36:37], v[36:37], -v[16:17]
	v_fma_f64 v[1:2], -v[5:6], v[38:39], v[54:55]
	v_fma_f64 v[3:4], -v[7:8], v[38:39], v[48:49]
	;; [unrolled: 1-line block ×4, first 2 shown]
	v_add_f64 v[14:15], v[26:27], -v[18:19]
	v_add_f64 v[16:17], v[28:29], -v[20:21]
	;; [unrolled: 1-line block ×4, first 2 shown]
	; wave barrier
	ds_write_b128 v11, v[1:4]
	ds_write_b128 v12, v[5:8]
	;; [unrolled: 1-line block ×3, first 2 shown]
	ds_write_b128 v11, v[18:21] offset:4096
	s_waitcnt lgkmcnt(0)
	; wave barrier
	ds_read_b128 v[1:4], v10 offset:1024
	v_add_u32_e32 v5, 16, v0
	v_min_i32_e32 v5, s4, v5
	v_lshlrev_b32_e32 v50, 4, v5
	ds_read_b128 v[5:8], v10
	s_waitcnt lgkmcnt(1)
	v_mul_f64 v[22:23], v[3:4], v[3:4]
	ds_read_b128 v[14:17], v50 offset:1024
	ds_read_b128 v[18:21], v50
	s_waitcnt lgkmcnt(1)
	v_mul_f64 v[24:25], v[16:17], v[16:17]
	v_fma_f64 v[38:39], v[1:2], v[1:2], v[22:23]
	v_fma_f64 v[40:41], v[14:15], v[14:15], v[24:25]
	v_div_scale_f64 v[22:23], s[2:3], v[38:39], v[38:39], 1.0
	v_div_scale_f64 v[24:25], s[2:3], v[40:41], v[40:41], 1.0
	v_div_scale_f64 v[34:35], s[2:3], 1.0, v[40:41], 1.0
	v_rcp_f64_e32 v[26:27], v[22:23]
	v_rcp_f64_e32 v[28:29], v[24:25]
	v_fma_f64 v[30:31], -v[22:23], v[26:27], 1.0
	v_fma_f64 v[32:33], -v[24:25], v[28:29], 1.0
	v_fma_f64 v[26:27], v[26:27], v[30:31], v[26:27]
	v_div_scale_f64 v[30:31], vcc, 1.0, v[38:39], 1.0
	v_fma_f64 v[28:29], v[28:29], v[32:33], v[28:29]
	v_fma_f64 v[32:33], -v[22:23], v[26:27], 1.0
	v_fma_f64 v[36:37], -v[24:25], v[28:29], 1.0
	v_fma_f64 v[26:27], v[26:27], v[32:33], v[26:27]
	v_fma_f64 v[32:33], v[28:29], v[36:37], v[28:29]
	v_mul_f64 v[28:29], v[30:31], v[26:27]
	v_mul_f64 v[36:37], v[34:35], v[32:33]
	v_fma_f64 v[22:23], -v[22:23], v[28:29], v[30:31]
	v_fma_f64 v[30:31], -v[24:25], v[36:37], v[34:35]
	v_div_fmas_f64 v[42:43], v[22:23], v[26:27], v[28:29]
	ds_read_b128 v[22:25], v11
	ds_read_b128 v[26:29], v13
	s_mov_b64 vcc, s[2:3]
	v_div_fmas_f64 v[44:45], v[30:31], v[32:33], v[36:37]
	s_waitcnt lgkmcnt(1)
	v_mul_f64 v[46:47], v[3:4], -v[22:23]
	ds_read_b128 v[30:33], v12
	ds_read_b128 v[34:37], v11 offset:4096
	v_mul_f64 v[3:4], v[3:4], v[24:25]
	v_cmp_gt_u32_e32 vcc, 32, v0
	s_waitcnt lgkmcnt(1)
	v_mul_f64 v[48:49], v[16:17], -v[30:31]
	v_mul_f64 v[16:17], v[16:17], v[32:33]
	v_fma_f64 v[24:25], v[24:25], v[1:2], v[46:47]
	v_div_fixup_f64 v[38:39], v[42:43], v[38:39], 1.0
	v_fma_f64 v[42:43], v[22:23], v[1:2], v[3:4]
	v_fma_f64 v[46:47], v[32:33], v[14:15], v[48:49]
	v_div_fixup_f64 v[40:41], v[44:45], v[40:41], 1.0
	v_fma_f64 v[44:45], v[30:31], v[14:15], v[16:17]
	v_mul_f64 v[48:49], v[38:39], v[24:25]
	ds_read_b128 v[1:4], v10 offset:2048
	ds_read_b128 v[14:17], v10 offset:4096
	;; [unrolled: 1-line block ×4, first 2 shown]
	v_mul_f64 v[38:39], v[38:39], v[42:43]
	s_waitcnt lgkmcnt(0)
	; wave barrier
	v_mul_f64 v[42:43], v[40:41], v[46:47]
	v_mul_f64 v[40:41], v[40:41], v[44:45]
	v_mul_f64 v[44:45], v[48:49], -v[3:4]
	v_mul_f64 v[46:47], v[48:49], v[1:2]
	v_mul_f64 v[50:51], v[48:49], -v[16:17]
	v_mul_f64 v[52:53], v[48:49], v[14:15]
	v_mul_f64 v[54:55], v[48:49], v[7:8]
	v_mul_f64 v[56:57], v[42:43], -v[20:21]
	v_mul_f64 v[58:59], v[42:43], v[18:19]
	v_mul_f64 v[60:61], v[42:43], -v[24:25]
	v_fma_f64 v[1:2], v[1:2], v[38:39], v[44:45]
	v_fma_f64 v[3:4], v[3:4], v[38:39], v[46:47]
	v_mul_f64 v[62:63], v[42:43], v[22:23]
	v_fma_f64 v[14:15], v[14:15], v[38:39], v[50:51]
	v_fma_f64 v[16:17], v[16:17], v[38:39], v[52:53]
	v_mul_f64 v[48:49], v[48:49], -v[5:6]
	v_mul_f64 v[64:65], v[42:43], v[32:33]
	v_mul_f64 v[42:43], v[42:43], -v[30:31]
	v_fma_f64 v[18:19], v[18:19], v[40:41], v[56:57]
	v_fma_f64 v[20:21], v[20:21], v[40:41], v[58:59]
	v_add_f64 v[26:27], v[26:27], -v[1:2]
	v_add_f64 v[28:29], v[28:29], -v[3:4]
	v_fma_f64 v[22:23], v[22:23], v[40:41], v[60:61]
	v_fma_f64 v[24:25], v[24:25], v[40:41], v[62:63]
	v_add_f64 v[34:35], v[34:35], -v[14:15]
	v_add_f64 v[36:37], v[36:37], -v[16:17]
	v_fma_f64 v[1:2], -v[5:6], v[38:39], v[54:55]
	v_fma_f64 v[3:4], -v[7:8], v[38:39], v[48:49]
	;; [unrolled: 1-line block ×4, first 2 shown]
	v_add_f64 v[14:15], v[26:27], -v[18:19]
	v_add_f64 v[16:17], v[28:29], -v[20:21]
	;; [unrolled: 1-line block ×4, first 2 shown]
	ds_write_b128 v11, v[1:4]
	ds_write_b128 v12, v[5:8]
	;; [unrolled: 1-line block ×3, first 2 shown]
	ds_write_b128 v11, v[18:21] offset:4096
	s_waitcnt lgkmcnt(0)
	; wave barrier
	s_and_saveexec_b64 s[2:3], vcc
	s_cbranch_execz .LBB88_14
; %bb.9:
	v_or_b32_e32 v5, 32, v0
	v_or_b32_e32 v6, 0x1000, v11
	v_cmp_le_i32_e32 vcc, s7, v5
                                        ; implicit-def: $vgpr3_vgpr4
	s_and_saveexec_b64 s[4:5], vcc
	s_xor_b64 s[4:5], exec, s[4:5]
	s_cbranch_execz .LBB88_11
; %bb.10:
	ds_read_b128 v[1:4], v13
	ds_read_b128 v[5:8], v6
	s_waitcnt lgkmcnt(1)
	v_mul_f64 v[10:11], v[3:4], v[3:4]
	v_fma_f64 v[10:11], v[1:2], v[1:2], v[10:11]
	v_div_scale_f64 v[12:13], s[6:7], v[10:11], v[10:11], 1.0
	v_rcp_f64_e32 v[14:15], v[12:13]
	v_fma_f64 v[16:17], -v[12:13], v[14:15], 1.0
	v_fma_f64 v[14:15], v[14:15], v[16:17], v[14:15]
	v_div_scale_f64 v[16:17], vcc, 1.0, v[10:11], 1.0
	v_fma_f64 v[18:19], -v[12:13], v[14:15], 1.0
	v_fma_f64 v[14:15], v[14:15], v[18:19], v[14:15]
	v_mul_f64 v[18:19], v[16:17], v[14:15]
	v_fma_f64 v[12:13], -v[12:13], v[18:19], v[16:17]
	v_div_fmas_f64 v[12:13], v[12:13], v[14:15], v[18:19]
	s_waitcnt lgkmcnt(0)
	v_mul_f64 v[14:15], v[3:4], v[7:8]
	v_mul_f64 v[3:4], v[3:4], -v[5:6]
	v_fma_f64 v[5:6], v[5:6], v[1:2], v[14:15]
	v_fma_f64 v[3:4], v[7:8], v[1:2], v[3:4]
	v_div_fixup_f64 v[10:11], v[12:13], v[10:11], 1.0
                                        ; implicit-def: $vgpr13
                                        ; implicit-def: $vgpr12
	v_mul_f64 v[1:2], v[10:11], v[5:6]
	v_mul_f64 v[3:4], v[10:11], v[3:4]
                                        ; implicit-def: $vgpr11
                                        ; implicit-def: $vgpr6
                                        ; implicit-def: $vgpr5
.LBB88_11:
	s_or_saveexec_b64 s[4:5], s[4:5]
	v_mov_b32_e32 v7, v0
	s_xor_b64 exec, exec, s[4:5]
	s_cbranch_execz .LBB88_13
; %bb.12:
	ds_read_b128 v[1:4], v13
	ds_read_b128 v[13:16], v13 offset:512
	ds_read_b128 v[17:20], v11 offset:512
	ds_read_b128 v[21:24], v12
	s_waitcnt lgkmcnt(2)
	v_mul_f64 v[7:8], v[3:4], v[13:14]
	v_mul_f64 v[27:28], v[3:4], -v[15:16]
	s_waitcnt lgkmcnt(0)
	v_mul_f64 v[25:26], v[19:20], v[21:22]
	v_mul_f64 v[29:30], v[19:20], -v[23:24]
	v_fma_f64 v[7:8], v[15:16], v[1:2], v[7:8]
	v_fma_f64 v[27:28], v[13:14], v[1:2], v[27:28]
	;; [unrolled: 1-line block ×4, first 2 shown]
	v_add_f64 v[7:8], v[7:8], -v[25:26]
	v_add_f64 v[33:34], v[27:28], -v[29:30]
	v_mul_f64 v[25:26], v[7:8], v[7:8]
	v_fma_f64 v[35:36], v[33:34], v[33:34], v[25:26]
	v_div_scale_f64 v[25:26], s[6:7], v[35:36], v[35:36], 1.0
	v_rcp_f64_e32 v[27:28], v[25:26]
	v_fma_f64 v[29:30], -v[25:26], v[27:28], 1.0
	v_fma_f64 v[27:28], v[27:28], v[29:30], v[27:28]
	v_div_scale_f64 v[29:30], vcc, 1.0, v[35:36], 1.0
	v_fma_f64 v[31:32], -v[25:26], v[27:28], 1.0
	v_fma_f64 v[37:38], v[27:28], v[31:32], v[27:28]
	v_mul_f64 v[39:40], v[29:30], v[37:38]
	v_fma_f64 v[41:42], -v[25:26], v[39:40], v[29:30]
	ds_read_b128 v[25:28], v6
	ds_read_b128 v[29:32], v6 offset:512
	s_waitcnt lgkmcnt(1)
	v_mul_f64 v[49:50], v[19:20], -v[27:28]
	s_waitcnt lgkmcnt(0)
	v_mul_f64 v[43:44], v[31:32], -v[23:24]
	v_mul_f64 v[45:46], v[21:22], v[31:32]
	v_div_fmas_f64 v[37:38], v[41:42], v[37:38], v[39:40]
	v_mul_f64 v[39:40], v[27:28], -v[15:16]
	v_mul_f64 v[41:42], v[13:14], v[27:28]
	v_mul_f64 v[47:48], v[3:4], -v[31:32]
	v_mul_f64 v[3:4], v[3:4], v[29:30]
	v_mul_f64 v[19:20], v[19:20], v[25:26]
	v_fma_f64 v[21:22], v[21:22], v[29:30], v[43:44]
	v_fma_f64 v[23:24], v[23:24], v[29:30], v[45:46]
	;; [unrolled: 1-line block ×5, first 2 shown]
	v_fma_f64 v[39:40], v[33:34], 0, -v[7:8]
	v_fma_f64 v[1:2], v[31:32], v[1:2], v[3:4]
	v_fma_f64 v[3:4], v[27:28], v[17:18], v[19:20]
	;; [unrolled: 1-line block ×3, first 2 shown]
	v_div_fixup_f64 v[35:36], v[37:38], v[35:36], 1.0
	v_fma_f64 v[6:7], v[7:8], 0, v[33:34]
	v_add_f64 v[14:15], v[14:15], -v[23:24]
	v_add_f64 v[12:13], v[12:13], -v[21:22]
	;; [unrolled: 1-line block ×4, first 2 shown]
	v_mul_f64 v[18:19], v[39:40], v[35:36]
	v_mul_f64 v[6:7], v[6:7], v[35:36]
	v_mul_f64 v[16:17], v[18:19], -v[14:15]
	v_mul_f64 v[20:21], v[18:19], v[12:13]
	v_mul_f64 v[22:23], v[18:19], -v[3:4]
	v_mul_f64 v[18:19], v[18:19], v[1:2]
	v_fma_f64 v[12:13], v[12:13], v[6:7], v[16:17]
	v_fma_f64 v[14:15], v[14:15], v[6:7], v[20:21]
	;; [unrolled: 1-line block ×4, first 2 shown]
	v_mov_b32_e32 v7, v5
	ds_write_b128 v11, v[12:15] offset:3072
.LBB88_13:
	s_or_b64 exec, exec, s[4:5]
	v_lshlrev_b32_e32 v5, 4, v7
	ds_write_b128 v5, v[1:4] offset:3072
.LBB88_14:
	s_or_b64 exec, exec, s[2:3]
	s_waitcnt lgkmcnt(0)
	; wave barrier
	s_and_saveexec_b64 s[2:3], s[0:1]
	s_cbranch_execz .LBB88_16
; %bb.15:
	v_mov_b32_e32 v1, 0xc00
	v_lshl_or_b32 v0, v0, 4, v1
	v_mov_b32_e32 v10, 0
	ds_read2_b64 v[0:3], v0 offset1:1
	v_lshlrev_b64 v[4:5], 4, v[9:10]
	v_mov_b32_e32 v6, s9
	v_add_co_u32_e32 v4, vcc, s8, v4
	v_addc_co_u32_e32 v5, vcc, v6, v5, vcc
	s_waitcnt lgkmcnt(0)
	global_store_dwordx4 v[4:5], v[0:3], off
.LBB88_16:
	s_endpgm
	.section	.rodata,"a",@progbits
	.p2align	6, 0x0
	.amdhsa_kernel _ZN9rocsparseL30gtsv_nopivot_pcr_shared_kernelILj64E21rocsparse_complex_numIdEEEviiiPKT0_S5_S5_PS3_
		.amdhsa_group_segment_fixed_size 5120
		.amdhsa_private_segment_fixed_size 0
		.amdhsa_kernarg_size 48
		.amdhsa_user_sgpr_count 6
		.amdhsa_user_sgpr_private_segment_buffer 1
		.amdhsa_user_sgpr_dispatch_ptr 0
		.amdhsa_user_sgpr_queue_ptr 0
		.amdhsa_user_sgpr_kernarg_segment_ptr 1
		.amdhsa_user_sgpr_dispatch_id 0
		.amdhsa_user_sgpr_flat_scratch_init 0
		.amdhsa_user_sgpr_private_segment_size 0
		.amdhsa_uses_dynamic_stack 0
		.amdhsa_system_sgpr_private_segment_wavefront_offset 0
		.amdhsa_system_sgpr_workgroup_id_x 1
		.amdhsa_system_sgpr_workgroup_id_y 0
		.amdhsa_system_sgpr_workgroup_id_z 0
		.amdhsa_system_sgpr_workgroup_info 0
		.amdhsa_system_vgpr_workitem_id 0
		.amdhsa_next_free_vgpr 66
		.amdhsa_next_free_sgpr 98
		.amdhsa_reserve_vcc 1
		.amdhsa_reserve_flat_scratch 0
		.amdhsa_float_round_mode_32 0
		.amdhsa_float_round_mode_16_64 0
		.amdhsa_float_denorm_mode_32 3
		.amdhsa_float_denorm_mode_16_64 3
		.amdhsa_dx10_clamp 1
		.amdhsa_ieee_mode 1
		.amdhsa_fp16_overflow 0
		.amdhsa_exception_fp_ieee_invalid_op 0
		.amdhsa_exception_fp_denorm_src 0
		.amdhsa_exception_fp_ieee_div_zero 0
		.amdhsa_exception_fp_ieee_overflow 0
		.amdhsa_exception_fp_ieee_underflow 0
		.amdhsa_exception_fp_ieee_inexact 0
		.amdhsa_exception_int_div_zero 0
	.end_amdhsa_kernel
	.section	.text._ZN9rocsparseL30gtsv_nopivot_pcr_shared_kernelILj64E21rocsparse_complex_numIdEEEviiiPKT0_S5_S5_PS3_,"axG",@progbits,_ZN9rocsparseL30gtsv_nopivot_pcr_shared_kernelILj64E21rocsparse_complex_numIdEEEviiiPKT0_S5_S5_PS3_,comdat
.Lfunc_end88:
	.size	_ZN9rocsparseL30gtsv_nopivot_pcr_shared_kernelILj64E21rocsparse_complex_numIdEEEviiiPKT0_S5_S5_PS3_, .Lfunc_end88-_ZN9rocsparseL30gtsv_nopivot_pcr_shared_kernelILj64E21rocsparse_complex_numIdEEEviiiPKT0_S5_S5_PS3_
                                        ; -- End function
	.set _ZN9rocsparseL30gtsv_nopivot_pcr_shared_kernelILj64E21rocsparse_complex_numIdEEEviiiPKT0_S5_S5_PS3_.num_vgpr, 66
	.set _ZN9rocsparseL30gtsv_nopivot_pcr_shared_kernelILj64E21rocsparse_complex_numIdEEEviiiPKT0_S5_S5_PS3_.num_agpr, 0
	.set _ZN9rocsparseL30gtsv_nopivot_pcr_shared_kernelILj64E21rocsparse_complex_numIdEEEviiiPKT0_S5_S5_PS3_.numbered_sgpr, 12
	.set _ZN9rocsparseL30gtsv_nopivot_pcr_shared_kernelILj64E21rocsparse_complex_numIdEEEviiiPKT0_S5_S5_PS3_.num_named_barrier, 0
	.set _ZN9rocsparseL30gtsv_nopivot_pcr_shared_kernelILj64E21rocsparse_complex_numIdEEEviiiPKT0_S5_S5_PS3_.private_seg_size, 0
	.set _ZN9rocsparseL30gtsv_nopivot_pcr_shared_kernelILj64E21rocsparse_complex_numIdEEEviiiPKT0_S5_S5_PS3_.uses_vcc, 1
	.set _ZN9rocsparseL30gtsv_nopivot_pcr_shared_kernelILj64E21rocsparse_complex_numIdEEEviiiPKT0_S5_S5_PS3_.uses_flat_scratch, 0
	.set _ZN9rocsparseL30gtsv_nopivot_pcr_shared_kernelILj64E21rocsparse_complex_numIdEEEviiiPKT0_S5_S5_PS3_.has_dyn_sized_stack, 0
	.set _ZN9rocsparseL30gtsv_nopivot_pcr_shared_kernelILj64E21rocsparse_complex_numIdEEEviiiPKT0_S5_S5_PS3_.has_recursion, 0
	.set _ZN9rocsparseL30gtsv_nopivot_pcr_shared_kernelILj64E21rocsparse_complex_numIdEEEviiiPKT0_S5_S5_PS3_.has_indirect_call, 0
	.section	.AMDGPU.csdata,"",@progbits
; Kernel info:
; codeLenInByte = 4824
; TotalNumSgprs: 16
; NumVgprs: 66
; ScratchSize: 0
; MemoryBound: 1
; FloatMode: 240
; IeeeMode: 1
; LDSByteSize: 5120 bytes/workgroup (compile time only)
; SGPRBlocks: 12
; VGPRBlocks: 16
; NumSGPRsForWavesPerEU: 102
; NumVGPRsForWavesPerEU: 66
; Occupancy: 3
; WaveLimiterHint : 0
; COMPUTE_PGM_RSRC2:SCRATCH_EN: 0
; COMPUTE_PGM_RSRC2:USER_SGPR: 6
; COMPUTE_PGM_RSRC2:TRAP_HANDLER: 0
; COMPUTE_PGM_RSRC2:TGID_X_EN: 1
; COMPUTE_PGM_RSRC2:TGID_Y_EN: 0
; COMPUTE_PGM_RSRC2:TGID_Z_EN: 0
; COMPUTE_PGM_RSRC2:TIDIG_COMP_CNT: 0
	.section	.text._ZN9rocsparseL30gtsv_nopivot_pcr_shared_kernelILj128E21rocsparse_complex_numIdEEEviiiPKT0_S5_S5_PS3_,"axG",@progbits,_ZN9rocsparseL30gtsv_nopivot_pcr_shared_kernelILj128E21rocsparse_complex_numIdEEEviiiPKT0_S5_S5_PS3_,comdat
	.globl	_ZN9rocsparseL30gtsv_nopivot_pcr_shared_kernelILj128E21rocsparse_complex_numIdEEEviiiPKT0_S5_S5_PS3_ ; -- Begin function _ZN9rocsparseL30gtsv_nopivot_pcr_shared_kernelILj128E21rocsparse_complex_numIdEEEviiiPKT0_S5_S5_PS3_
	.p2align	8
	.type	_ZN9rocsparseL30gtsv_nopivot_pcr_shared_kernelILj128E21rocsparse_complex_numIdEEEviiiPKT0_S5_S5_PS3_,@function
_ZN9rocsparseL30gtsv_nopivot_pcr_shared_kernelILj128E21rocsparse_complex_numIdEEEviiiPKT0_S5_S5_PS3_: ; @_ZN9rocsparseL30gtsv_nopivot_pcr_shared_kernelILj128E21rocsparse_complex_numIdEEEviiiPKT0_S5_S5_PS3_
; %bb.0:
	s_load_dword s7, s[4:5], 0x0
	v_mov_b32_e32 v3, 0
	v_mov_b32_e32 v7, 0
	;; [unrolled: 1-line block ×5, first 2 shown]
	s_waitcnt lgkmcnt(0)
	v_cmp_gt_i32_e64 s[0:1], s7, v0
	v_mov_b32_e32 v10, 0
	v_lshlrev_b32_e32 v11, 4, v0
	s_and_saveexec_b64 s[2:3], s[0:1]
	s_cbranch_execz .LBB89_2
; %bb.1:
	s_load_dwordx2 s[8:9], s[4:5], 0x10
	s_waitcnt lgkmcnt(0)
	global_load_dwordx4 v[7:10], v11, s[8:9]
.LBB89_2:
	s_or_b64 exec, exec, s[2:3]
	v_mov_b32_e32 v5, 0
	v_mov_b32_e32 v6, 0
	s_waitcnt vmcnt(0)
	ds_write_b128 v11, v[7:10]
	s_and_saveexec_b64 s[2:3], s[0:1]
	s_cbranch_execz .LBB89_4
; %bb.3:
	s_load_dwordx2 s[8:9], s[4:5], 0x18
	s_waitcnt lgkmcnt(0)
	global_load_dwordx4 v[3:6], v11, s[8:9]
.LBB89_4:
	s_or_b64 exec, exec, s[2:3]
	s_load_dwordx2 s[8:9], s[4:5], 0x28
	v_mov_b32_e32 v1, 0
	v_mov_b32_e32 v7, 0
	;; [unrolled: 1-line block ×6, first 2 shown]
	s_waitcnt vmcnt(0)
	ds_write_b128 v11, v[3:6] offset:2048
	s_and_saveexec_b64 s[2:3], s[0:1]
	s_cbranch_execz .LBB89_6
; %bb.5:
	s_load_dwordx2 s[10:11], s[4:5], 0x20
	s_waitcnt lgkmcnt(0)
	global_load_dwordx4 v[7:10], v11, s[10:11]
.LBB89_6:
	s_or_b64 exec, exec, s[2:3]
	s_load_dword s2, s[4:5], 0x8
	v_mov_b32_e32 v3, 0
	v_mov_b32_e32 v4, 0
	s_waitcnt vmcnt(0)
	ds_write_b128 v11, v[7:10] offset:4096
	s_waitcnt lgkmcnt(0)
	s_mul_i32 s2, s2, s6
	v_add_u32_e32 v5, s2, v0
	s_and_saveexec_b64 s[2:3], s[0:1]
	s_cbranch_execz .LBB89_8
; %bb.7:
	v_mov_b32_e32 v6, 0
	v_lshlrev_b64 v[1:2], 4, v[5:6]
	v_mov_b32_e32 v3, s9
	v_add_co_u32_e32 v1, vcc, s8, v1
	v_addc_co_u32_e32 v2, vcc, v3, v2, vcc
	global_load_dwordx4 v[1:4], v[1:2], off
.LBB89_8:
	s_or_b64 exec, exec, s[2:3]
	v_mov_b32_e32 v7, v0
	v_or_b32_e32 v9, 0x800, v11
	v_or_b32_e32 v8, 0x1000, v11
	;; [unrolled: 1-line block ×3, first 2 shown]
	s_add_i32 s4, s7, -1
	s_mov_b32 s5, 1
	s_mov_b32 s6, 6
	s_waitcnt vmcnt(0)
	ds_write_b128 v11, v[1:4] offset:8192
	s_waitcnt lgkmcnt(0)
	s_barrier
.LBB89_9:                               ; =>This Inner Loop Header: Depth=1
	v_add_u32_e32 v10, s5, v0
	v_subrev_u32_e32 v24, s5, v0
	v_min_i32_e32 v10, s4, v10
	v_max_i32_e32 v24, 0, v24
	v_lshlrev_b32_e32 v44, 4, v24
	v_lshlrev_b32_e32 v10, 4, v10
	ds_read_b128 v[1:4], v11
	ds_read_b128 v[12:15], v9
	;; [unrolled: 1-line block ×4, first 2 shown]
	ds_read_b128 v[24:27], v10 offset:2048
	ds_read_b128 v[28:31], v10
	ds_read_b128 v[32:35], v44 offset:4096
	ds_read_b128 v[36:39], v44 offset:8192
	;; [unrolled: 1-line block ×3, first 2 shown]
	ds_read_b128 v[44:47], v44
	ds_read_b128 v[48:51], v10 offset:8192
	ds_read_b128 v[52:55], v10 offset:4096
	s_waitcnt lgkmcnt(7)
	v_mul_f64 v[60:61], v[26:27], v[26:27]
	s_waitcnt lgkmcnt(3)
	v_mul_f64 v[56:57], v[42:43], v[42:43]
	v_mul_f64 v[58:59], v[42:43], v[3:4]
	v_mul_f64 v[42:43], v[42:43], -v[1:2]
	v_mul_f64 v[62:63], v[26:27], v[18:19]
	v_mul_f64 v[26:27], v[26:27], -v[16:17]
	s_lshl_b32 s5, s5, 1
	s_add_i32 s6, s6, -1
	s_cmp_eq_u32 s6, 0
	v_fma_f64 v[56:57], v[40:41], v[40:41], v[56:57]
	v_fma_f64 v[1:2], v[1:2], v[40:41], v[58:59]
	;; [unrolled: 1-line block ×6, first 2 shown]
	s_waitcnt lgkmcnt(0)
	s_barrier
	v_div_scale_f64 v[24:25], s[2:3], v[56:57], v[56:57], 1.0
	v_div_scale_f64 v[42:43], vcc, 1.0, v[56:57], 1.0
	v_div_scale_f64 v[26:27], s[2:3], v[40:41], v[40:41], 1.0
	v_div_scale_f64 v[58:59], s[2:3], 1.0, v[40:41], 1.0
	v_rcp_f64_e32 v[60:61], v[24:25]
	v_rcp_f64_e32 v[62:63], v[26:27]
	v_fma_f64 v[64:65], -v[24:25], v[60:61], 1.0
	v_fma_f64 v[66:67], -v[26:27], v[62:63], 1.0
	v_fma_f64 v[60:61], v[60:61], v[64:65], v[60:61]
	v_fma_f64 v[62:63], v[62:63], v[66:67], v[62:63]
	v_fma_f64 v[64:65], -v[24:25], v[60:61], 1.0
	v_fma_f64 v[66:67], -v[26:27], v[62:63], 1.0
	v_fma_f64 v[60:61], v[60:61], v[64:65], v[60:61]
	v_fma_f64 v[62:63], v[62:63], v[66:67], v[62:63]
	v_mul_f64 v[64:65], v[42:43], v[60:61]
	v_mul_f64 v[66:67], v[58:59], v[62:63]
	v_fma_f64 v[24:25], -v[24:25], v[64:65], v[42:43]
	v_fma_f64 v[26:27], -v[26:27], v[66:67], v[58:59]
	v_div_fmas_f64 v[24:25], v[24:25], v[60:61], v[64:65]
	s_mov_b64 vcc, s[2:3]
	v_div_fmas_f64 v[26:27], v[26:27], v[62:63], v[66:67]
	v_div_fixup_f64 v[24:25], v[24:25], v[56:57], 1.0
	v_div_fixup_f64 v[26:27], v[26:27], v[40:41], 1.0
	v_mul_f64 v[3:4], v[24:25], v[3:4]
	v_mul_f64 v[24:25], v[24:25], v[1:2]
	;; [unrolled: 1-line block ×4, first 2 shown]
	v_mul_f64 v[16:17], v[3:4], -v[34:35]
	v_mul_f64 v[26:27], v[3:4], v[32:33]
	v_mul_f64 v[40:41], v[3:4], -v[38:39]
	v_mul_f64 v[42:43], v[3:4], v[36:37]
	v_mul_f64 v[56:57], v[3:4], v[46:47]
	v_mul_f64 v[3:4], v[3:4], -v[44:45]
	v_mul_f64 v[58:59], v[1:2], -v[30:31]
	v_mul_f64 v[60:61], v[1:2], v[28:29]
	v_fma_f64 v[32:33], v[32:33], v[24:25], v[16:17]
	v_fma_f64 v[26:27], v[34:35], v[24:25], v[26:27]
	v_mul_f64 v[62:63], v[1:2], -v[50:51]
	v_mul_f64 v[64:65], v[1:2], v[48:49]
	v_fma_f64 v[34:35], v[36:37], v[24:25], v[40:41]
	v_fma_f64 v[36:37], v[38:39], v[24:25], v[42:43]
	v_mul_f64 v[66:67], v[1:2], v[54:55]
	v_mul_f64 v[68:69], v[1:2], -v[52:53]
	v_fma_f64 v[1:2], -v[44:45], v[24:25], v[56:57]
	v_fma_f64 v[3:4], -v[46:47], v[24:25], v[3:4]
	v_fma_f64 v[24:25], v[28:29], v[18:19], v[58:59]
	v_fma_f64 v[28:29], v[30:31], v[18:19], v[60:61]
	v_add_f64 v[12:13], v[12:13], -v[32:33]
	v_add_f64 v[14:15], v[14:15], -v[26:27]
	v_fma_f64 v[30:31], v[48:49], v[18:19], v[62:63]
	v_fma_f64 v[38:39], v[50:51], v[18:19], v[64:65]
	v_add_f64 v[20:21], v[20:21], -v[34:35]
	v_add_f64 v[22:23], v[22:23], -v[36:37]
	v_fma_f64 v[16:17], -v[52:53], v[18:19], v[66:67]
	v_fma_f64 v[18:19], -v[54:55], v[18:19], v[68:69]
	v_add_f64 v[12:13], v[12:13], -v[24:25]
	v_add_f64 v[14:15], v[14:15], -v[28:29]
	;; [unrolled: 1-line block ×4, first 2 shown]
	ds_write_b128 v11, v[1:4]
	ds_write_b128 v8, v[16:19]
	ds_write_b128 v9, v[12:15]
	ds_write_b128 v6, v[20:23]
	s_waitcnt lgkmcnt(0)
	s_barrier
	s_cbranch_scc0 .LBB89_9
; %bb.10:
	v_cmp_gt_u32_e32 vcc, 64, v0
	s_and_saveexec_b64 s[2:3], vcc
	s_cbranch_execz .LBB89_16
; %bb.11:
	v_or_b32_e32 v10, 64, v0
	v_cmp_le_i32_e32 vcc, s7, v10
                                        ; implicit-def: $vgpr3_vgpr4
	s_and_saveexec_b64 s[4:5], vcc
	s_xor_b64 s[4:5], exec, s[4:5]
	s_cbranch_execz .LBB89_13
; %bb.12:
	ds_read_b128 v[1:4], v9
	ds_read_b128 v[8:11], v6
                                        ; implicit-def: $vgpr6
	s_waitcnt lgkmcnt(1)
	v_mul_f64 v[12:13], v[3:4], v[3:4]
	v_fma_f64 v[12:13], v[1:2], v[1:2], v[12:13]
	v_div_scale_f64 v[14:15], s[6:7], v[12:13], v[12:13], 1.0
	v_rcp_f64_e32 v[16:17], v[14:15]
	v_fma_f64 v[18:19], -v[14:15], v[16:17], 1.0
	v_fma_f64 v[16:17], v[16:17], v[18:19], v[16:17]
	v_div_scale_f64 v[18:19], vcc, 1.0, v[12:13], 1.0
	v_fma_f64 v[20:21], -v[14:15], v[16:17], 1.0
	v_fma_f64 v[16:17], v[16:17], v[20:21], v[16:17]
	v_mul_f64 v[20:21], v[18:19], v[16:17]
	v_fma_f64 v[14:15], -v[14:15], v[20:21], v[18:19]
	v_div_fmas_f64 v[14:15], v[14:15], v[16:17], v[20:21]
	s_waitcnt lgkmcnt(0)
	v_mul_f64 v[16:17], v[3:4], v[10:11]
	v_mul_f64 v[3:4], v[3:4], -v[8:9]
	v_fma_f64 v[8:9], v[8:9], v[1:2], v[16:17]
	v_fma_f64 v[3:4], v[10:11], v[1:2], v[3:4]
                                        ; implicit-def: $vgpr11
                                        ; implicit-def: $vgpr10
	v_div_fixup_f64 v[12:13], v[14:15], v[12:13], 1.0
	v_mul_f64 v[1:2], v[12:13], v[8:9]
	v_mul_f64 v[3:4], v[12:13], v[3:4]
                                        ; implicit-def: $vgpr9
                                        ; implicit-def: $vgpr8
.LBB89_13:
	s_andn2_saveexec_b64 s[4:5], s[4:5]
	s_cbranch_execz .LBB89_15
; %bb.14:
	ds_read_b128 v[1:4], v9
	ds_read_b128 v[12:15], v9 offset:1024
	ds_read_b128 v[16:19], v11 offset:1024
	ds_read_b128 v[20:23], v8
	s_waitcnt lgkmcnt(2)
	v_mul_f64 v[7:8], v[3:4], v[12:13]
	v_mul_f64 v[26:27], v[3:4], -v[14:15]
	s_waitcnt lgkmcnt(0)
	v_mul_f64 v[24:25], v[18:19], v[20:21]
	v_mul_f64 v[28:29], v[18:19], -v[22:23]
	v_fma_f64 v[7:8], v[14:15], v[1:2], v[7:8]
	v_fma_f64 v[26:27], v[12:13], v[1:2], v[26:27]
	;; [unrolled: 1-line block ×4, first 2 shown]
	v_add_f64 v[30:31], v[7:8], -v[24:25]
	v_add_f64 v[28:29], v[26:27], -v[28:29]
	v_mul_f64 v[7:8], v[30:31], v[30:31]
	v_fma_f64 v[32:33], v[28:29], v[28:29], v[7:8]
	v_div_scale_f64 v[7:8], s[6:7], v[32:33], v[32:33], 1.0
	v_rcp_f64_e32 v[24:25], v[7:8]
	v_fma_f64 v[26:27], -v[7:8], v[24:25], 1.0
	v_fma_f64 v[24:25], v[24:25], v[26:27], v[24:25]
	v_div_scale_f64 v[26:27], vcc, 1.0, v[32:33], 1.0
	v_fma_f64 v[34:35], -v[7:8], v[24:25], 1.0
	v_fma_f64 v[34:35], v[24:25], v[34:35], v[24:25]
	v_mul_f64 v[36:37], v[26:27], v[34:35]
	v_fma_f64 v[38:39], -v[7:8], v[36:37], v[26:27]
	ds_read_b128 v[24:27], v6
	ds_read_b128 v[6:9], v6 offset:1024
	s_waitcnt lgkmcnt(1)
	v_mul_f64 v[46:47], v[18:19], -v[26:27]
	s_waitcnt lgkmcnt(0)
	v_mul_f64 v[40:41], v[8:9], -v[22:23]
	v_mul_f64 v[42:43], v[20:21], v[8:9]
	v_div_fmas_f64 v[34:35], v[38:39], v[34:35], v[36:37]
	v_mul_f64 v[36:37], v[26:27], -v[14:15]
	v_mul_f64 v[38:39], v[12:13], v[26:27]
	v_mul_f64 v[44:45], v[3:4], -v[8:9]
	v_mul_f64 v[3:4], v[3:4], v[6:7]
	v_mul_f64 v[18:19], v[18:19], v[24:25]
	v_fma_f64 v[20:21], v[20:21], v[6:7], v[40:41]
	v_fma_f64 v[22:23], v[22:23], v[6:7], v[42:43]
	;; [unrolled: 1-line block ×4, first 2 shown]
	v_fma_f64 v[36:37], v[28:29], 0, -v[30:31]
	v_fma_f64 v[6:7], v[6:7], v[1:2], v[44:45]
	v_fma_f64 v[1:2], v[8:9], v[1:2], v[3:4]
	;; [unrolled: 1-line block ×4, first 2 shown]
	v_div_fixup_f64 v[32:33], v[34:35], v[32:33], 1.0
	v_fma_f64 v[16:17], v[30:31], 0, v[28:29]
	v_add_f64 v[14:15], v[14:15], -v[22:23]
	v_add_f64 v[12:13], v[12:13], -v[20:21]
	;; [unrolled: 1-line block ×4, first 2 shown]
	v_mul_f64 v[18:19], v[36:37], v[32:33]
	v_mul_f64 v[16:17], v[16:17], v[32:33]
	v_mul_f64 v[6:7], v[18:19], -v[14:15]
	v_mul_f64 v[8:9], v[18:19], v[12:13]
	v_mul_f64 v[20:21], v[18:19], -v[3:4]
	v_mul_f64 v[18:19], v[18:19], v[1:2]
	v_fma_f64 v[6:7], v[12:13], v[16:17], v[6:7]
	v_fma_f64 v[8:9], v[14:15], v[16:17], v[8:9]
	v_fma_f64 v[1:2], v[1:2], v[16:17], v[20:21]
	v_fma_f64 v[3:4], v[3:4], v[16:17], v[18:19]
	ds_write_b128 v11, v[6:9] offset:6144
	v_mov_b32_e32 v7, v10
.LBB89_15:
	s_or_b64 exec, exec, s[4:5]
	v_lshlrev_b32_e32 v6, 4, v7
	ds_write_b128 v6, v[1:4] offset:6144
.LBB89_16:
	s_or_b64 exec, exec, s[2:3]
	s_waitcnt lgkmcnt(0)
	s_barrier
	s_and_saveexec_b64 s[2:3], s[0:1]
	s_cbranch_execz .LBB89_18
; %bb.17:
	v_mov_b32_e32 v1, 0x1800
	v_lshl_or_b32 v0, v0, 4, v1
	v_mov_b32_e32 v6, 0
	ds_read2_b64 v[0:3], v0 offset1:1
	v_lshlrev_b64 v[4:5], 4, v[5:6]
	v_mov_b32_e32 v6, s9
	v_add_co_u32_e32 v4, vcc, s8, v4
	v_addc_co_u32_e32 v5, vcc, v6, v5, vcc
	s_waitcnt lgkmcnt(0)
	global_store_dwordx4 v[4:5], v[0:3], off
.LBB89_18:
	s_endpgm
	.section	.rodata,"a",@progbits
	.p2align	6, 0x0
	.amdhsa_kernel _ZN9rocsparseL30gtsv_nopivot_pcr_shared_kernelILj128E21rocsparse_complex_numIdEEEviiiPKT0_S5_S5_PS3_
		.amdhsa_group_segment_fixed_size 10240
		.amdhsa_private_segment_fixed_size 0
		.amdhsa_kernarg_size 48
		.amdhsa_user_sgpr_count 6
		.amdhsa_user_sgpr_private_segment_buffer 1
		.amdhsa_user_sgpr_dispatch_ptr 0
		.amdhsa_user_sgpr_queue_ptr 0
		.amdhsa_user_sgpr_kernarg_segment_ptr 1
		.amdhsa_user_sgpr_dispatch_id 0
		.amdhsa_user_sgpr_flat_scratch_init 0
		.amdhsa_user_sgpr_private_segment_size 0
		.amdhsa_uses_dynamic_stack 0
		.amdhsa_system_sgpr_private_segment_wavefront_offset 0
		.amdhsa_system_sgpr_workgroup_id_x 1
		.amdhsa_system_sgpr_workgroup_id_y 0
		.amdhsa_system_sgpr_workgroup_id_z 0
		.amdhsa_system_sgpr_workgroup_info 0
		.amdhsa_system_vgpr_workitem_id 0
		.amdhsa_next_free_vgpr 70
		.amdhsa_next_free_sgpr 98
		.amdhsa_reserve_vcc 1
		.amdhsa_reserve_flat_scratch 0
		.amdhsa_float_round_mode_32 0
		.amdhsa_float_round_mode_16_64 0
		.amdhsa_float_denorm_mode_32 3
		.amdhsa_float_denorm_mode_16_64 3
		.amdhsa_dx10_clamp 1
		.amdhsa_ieee_mode 1
		.amdhsa_fp16_overflow 0
		.amdhsa_exception_fp_ieee_invalid_op 0
		.amdhsa_exception_fp_denorm_src 0
		.amdhsa_exception_fp_ieee_div_zero 0
		.amdhsa_exception_fp_ieee_overflow 0
		.amdhsa_exception_fp_ieee_underflow 0
		.amdhsa_exception_fp_ieee_inexact 0
		.amdhsa_exception_int_div_zero 0
	.end_amdhsa_kernel
	.section	.text._ZN9rocsparseL30gtsv_nopivot_pcr_shared_kernelILj128E21rocsparse_complex_numIdEEEviiiPKT0_S5_S5_PS3_,"axG",@progbits,_ZN9rocsparseL30gtsv_nopivot_pcr_shared_kernelILj128E21rocsparse_complex_numIdEEEviiiPKT0_S5_S5_PS3_,comdat
.Lfunc_end89:
	.size	_ZN9rocsparseL30gtsv_nopivot_pcr_shared_kernelILj128E21rocsparse_complex_numIdEEEviiiPKT0_S5_S5_PS3_, .Lfunc_end89-_ZN9rocsparseL30gtsv_nopivot_pcr_shared_kernelILj128E21rocsparse_complex_numIdEEEviiiPKT0_S5_S5_PS3_
                                        ; -- End function
	.set _ZN9rocsparseL30gtsv_nopivot_pcr_shared_kernelILj128E21rocsparse_complex_numIdEEEviiiPKT0_S5_S5_PS3_.num_vgpr, 70
	.set _ZN9rocsparseL30gtsv_nopivot_pcr_shared_kernelILj128E21rocsparse_complex_numIdEEEviiiPKT0_S5_S5_PS3_.num_agpr, 0
	.set _ZN9rocsparseL30gtsv_nopivot_pcr_shared_kernelILj128E21rocsparse_complex_numIdEEEviiiPKT0_S5_S5_PS3_.numbered_sgpr, 12
	.set _ZN9rocsparseL30gtsv_nopivot_pcr_shared_kernelILj128E21rocsparse_complex_numIdEEEviiiPKT0_S5_S5_PS3_.num_named_barrier, 0
	.set _ZN9rocsparseL30gtsv_nopivot_pcr_shared_kernelILj128E21rocsparse_complex_numIdEEEviiiPKT0_S5_S5_PS3_.private_seg_size, 0
	.set _ZN9rocsparseL30gtsv_nopivot_pcr_shared_kernelILj128E21rocsparse_complex_numIdEEEviiiPKT0_S5_S5_PS3_.uses_vcc, 1
	.set _ZN9rocsparseL30gtsv_nopivot_pcr_shared_kernelILj128E21rocsparse_complex_numIdEEEviiiPKT0_S5_S5_PS3_.uses_flat_scratch, 0
	.set _ZN9rocsparseL30gtsv_nopivot_pcr_shared_kernelILj128E21rocsparse_complex_numIdEEEviiiPKT0_S5_S5_PS3_.has_dyn_sized_stack, 0
	.set _ZN9rocsparseL30gtsv_nopivot_pcr_shared_kernelILj128E21rocsparse_complex_numIdEEEviiiPKT0_S5_S5_PS3_.has_recursion, 0
	.set _ZN9rocsparseL30gtsv_nopivot_pcr_shared_kernelILj128E21rocsparse_complex_numIdEEEviiiPKT0_S5_S5_PS3_.has_indirect_call, 0
	.section	.AMDGPU.csdata,"",@progbits
; Kernel info:
; codeLenInByte = 1924
; TotalNumSgprs: 16
; NumVgprs: 70
; ScratchSize: 0
; MemoryBound: 1
; FloatMode: 240
; IeeeMode: 1
; LDSByteSize: 10240 bytes/workgroup (compile time only)
; SGPRBlocks: 12
; VGPRBlocks: 17
; NumSGPRsForWavesPerEU: 102
; NumVGPRsForWavesPerEU: 70
; Occupancy: 3
; WaveLimiterHint : 0
; COMPUTE_PGM_RSRC2:SCRATCH_EN: 0
; COMPUTE_PGM_RSRC2:USER_SGPR: 6
; COMPUTE_PGM_RSRC2:TRAP_HANDLER: 0
; COMPUTE_PGM_RSRC2:TGID_X_EN: 1
; COMPUTE_PGM_RSRC2:TGID_Y_EN: 0
; COMPUTE_PGM_RSRC2:TGID_Z_EN: 0
; COMPUTE_PGM_RSRC2:TIDIG_COMP_CNT: 0
	.section	.text._ZN9rocsparseL30gtsv_nopivot_pcr_shared_kernelILj256E21rocsparse_complex_numIdEEEviiiPKT0_S5_S5_PS3_,"axG",@progbits,_ZN9rocsparseL30gtsv_nopivot_pcr_shared_kernelILj256E21rocsparse_complex_numIdEEEviiiPKT0_S5_S5_PS3_,comdat
	.globl	_ZN9rocsparseL30gtsv_nopivot_pcr_shared_kernelILj256E21rocsparse_complex_numIdEEEviiiPKT0_S5_S5_PS3_ ; -- Begin function _ZN9rocsparseL30gtsv_nopivot_pcr_shared_kernelILj256E21rocsparse_complex_numIdEEEviiiPKT0_S5_S5_PS3_
	.p2align	8
	.type	_ZN9rocsparseL30gtsv_nopivot_pcr_shared_kernelILj256E21rocsparse_complex_numIdEEEviiiPKT0_S5_S5_PS3_,@function
_ZN9rocsparseL30gtsv_nopivot_pcr_shared_kernelILj256E21rocsparse_complex_numIdEEEviiiPKT0_S5_S5_PS3_: ; @_ZN9rocsparseL30gtsv_nopivot_pcr_shared_kernelILj256E21rocsparse_complex_numIdEEEviiiPKT0_S5_S5_PS3_
; %bb.0:
	s_load_dword s7, s[4:5], 0x0
	v_mov_b32_e32 v3, 0
	v_mov_b32_e32 v7, 0
	;; [unrolled: 1-line block ×5, first 2 shown]
	s_waitcnt lgkmcnt(0)
	v_cmp_gt_i32_e64 s[0:1], s7, v0
	v_mov_b32_e32 v10, 0
	v_lshlrev_b32_e32 v11, 4, v0
	s_and_saveexec_b64 s[2:3], s[0:1]
	s_cbranch_execz .LBB90_2
; %bb.1:
	s_load_dwordx2 s[8:9], s[4:5], 0x10
	s_waitcnt lgkmcnt(0)
	global_load_dwordx4 v[7:10], v11, s[8:9]
.LBB90_2:
	s_or_b64 exec, exec, s[2:3]
	v_mov_b32_e32 v5, 0
	v_mov_b32_e32 v6, 0
	s_waitcnt vmcnt(0)
	ds_write_b128 v11, v[7:10]
	s_and_saveexec_b64 s[2:3], s[0:1]
	s_cbranch_execz .LBB90_4
; %bb.3:
	s_load_dwordx2 s[8:9], s[4:5], 0x18
	s_waitcnt lgkmcnt(0)
	global_load_dwordx4 v[3:6], v11, s[8:9]
.LBB90_4:
	s_or_b64 exec, exec, s[2:3]
	s_load_dwordx2 s[8:9], s[4:5], 0x28
	v_mov_b32_e32 v1, 0
	v_mov_b32_e32 v7, 0
	v_mov_b32_e32 v9, 0
	v_mov_b32_e32 v2, 0
	v_mov_b32_e32 v8, 0
	v_mov_b32_e32 v10, 0
	s_waitcnt vmcnt(0)
	ds_write_b128 v11, v[3:6] offset:4096
	s_and_saveexec_b64 s[2:3], s[0:1]
	s_cbranch_execz .LBB90_6
; %bb.5:
	s_load_dwordx2 s[10:11], s[4:5], 0x20
	s_waitcnt lgkmcnt(0)
	global_load_dwordx4 v[7:10], v11, s[10:11]
.LBB90_6:
	s_or_b64 exec, exec, s[2:3]
	s_load_dword s2, s[4:5], 0x8
	v_mov_b32_e32 v3, 0
	v_mov_b32_e32 v4, 0
	s_waitcnt vmcnt(0)
	ds_write_b128 v11, v[7:10] offset:8192
	s_waitcnt lgkmcnt(0)
	s_mul_i32 s2, s2, s6
	v_add_u32_e32 v5, s2, v0
	s_and_saveexec_b64 s[2:3], s[0:1]
	s_cbranch_execz .LBB90_8
; %bb.7:
	v_mov_b32_e32 v6, 0
	v_lshlrev_b64 v[1:2], 4, v[5:6]
	v_mov_b32_e32 v3, s9
	v_add_co_u32_e32 v1, vcc, s8, v1
	v_addc_co_u32_e32 v2, vcc, v3, v2, vcc
	global_load_dwordx4 v[1:4], v[1:2], off
.LBB90_8:
	s_or_b64 exec, exec, s[2:3]
	v_mov_b32_e32 v7, v0
	v_or_b32_e32 v9, 0x1000, v11
	v_or_b32_e32 v8, 0x2000, v11
	;; [unrolled: 1-line block ×3, first 2 shown]
	s_add_i32 s4, s7, -1
	s_mov_b32 s5, 1
	s_mov_b32 s6, 7
	s_waitcnt vmcnt(0)
	ds_write_b128 v11, v[1:4] offset:16384
	s_waitcnt lgkmcnt(0)
	s_barrier
.LBB90_9:                               ; =>This Inner Loop Header: Depth=1
	v_add_u32_e32 v10, s5, v0
	v_subrev_u32_e32 v24, s5, v0
	v_min_i32_e32 v10, s4, v10
	v_max_i32_e32 v24, 0, v24
	v_lshlrev_b32_e32 v44, 4, v24
	v_lshlrev_b32_e32 v10, 4, v10
	ds_read_b128 v[1:4], v11
	ds_read_b128 v[12:15], v9
	;; [unrolled: 1-line block ×4, first 2 shown]
	ds_read_b128 v[24:27], v10 offset:4096
	ds_read_b128 v[28:31], v10
	ds_read_b128 v[32:35], v44 offset:8192
	ds_read_b128 v[36:39], v44 offset:16384
	;; [unrolled: 1-line block ×3, first 2 shown]
	ds_read_b128 v[44:47], v44
	ds_read_b128 v[48:51], v10 offset:16384
	ds_read_b128 v[52:55], v10 offset:8192
	s_waitcnt lgkmcnt(7)
	v_mul_f64 v[60:61], v[26:27], v[26:27]
	s_waitcnt lgkmcnt(3)
	v_mul_f64 v[56:57], v[42:43], v[42:43]
	v_mul_f64 v[58:59], v[42:43], v[3:4]
	v_mul_f64 v[42:43], v[42:43], -v[1:2]
	v_mul_f64 v[62:63], v[26:27], v[18:19]
	v_mul_f64 v[26:27], v[26:27], -v[16:17]
	s_lshl_b32 s5, s5, 1
	s_add_i32 s6, s6, -1
	s_cmp_eq_u32 s6, 0
	v_fma_f64 v[56:57], v[40:41], v[40:41], v[56:57]
	v_fma_f64 v[1:2], v[1:2], v[40:41], v[58:59]
	;; [unrolled: 1-line block ×6, first 2 shown]
	s_waitcnt lgkmcnt(0)
	s_barrier
	v_div_scale_f64 v[24:25], s[2:3], v[56:57], v[56:57], 1.0
	v_div_scale_f64 v[42:43], vcc, 1.0, v[56:57], 1.0
	v_div_scale_f64 v[26:27], s[2:3], v[40:41], v[40:41], 1.0
	v_div_scale_f64 v[58:59], s[2:3], 1.0, v[40:41], 1.0
	v_rcp_f64_e32 v[60:61], v[24:25]
	v_rcp_f64_e32 v[62:63], v[26:27]
	v_fma_f64 v[64:65], -v[24:25], v[60:61], 1.0
	v_fma_f64 v[66:67], -v[26:27], v[62:63], 1.0
	v_fma_f64 v[60:61], v[60:61], v[64:65], v[60:61]
	v_fma_f64 v[62:63], v[62:63], v[66:67], v[62:63]
	v_fma_f64 v[64:65], -v[24:25], v[60:61], 1.0
	v_fma_f64 v[66:67], -v[26:27], v[62:63], 1.0
	v_fma_f64 v[60:61], v[60:61], v[64:65], v[60:61]
	v_fma_f64 v[62:63], v[62:63], v[66:67], v[62:63]
	v_mul_f64 v[64:65], v[42:43], v[60:61]
	v_mul_f64 v[66:67], v[58:59], v[62:63]
	v_fma_f64 v[24:25], -v[24:25], v[64:65], v[42:43]
	v_fma_f64 v[26:27], -v[26:27], v[66:67], v[58:59]
	v_div_fmas_f64 v[24:25], v[24:25], v[60:61], v[64:65]
	s_mov_b64 vcc, s[2:3]
	v_div_fmas_f64 v[26:27], v[26:27], v[62:63], v[66:67]
	v_div_fixup_f64 v[24:25], v[24:25], v[56:57], 1.0
	v_div_fixup_f64 v[26:27], v[26:27], v[40:41], 1.0
	v_mul_f64 v[3:4], v[24:25], v[3:4]
	v_mul_f64 v[24:25], v[24:25], v[1:2]
	;; [unrolled: 1-line block ×4, first 2 shown]
	v_mul_f64 v[16:17], v[3:4], -v[34:35]
	v_mul_f64 v[26:27], v[3:4], v[32:33]
	v_mul_f64 v[40:41], v[3:4], -v[38:39]
	v_mul_f64 v[42:43], v[3:4], v[36:37]
	v_mul_f64 v[56:57], v[3:4], v[46:47]
	v_mul_f64 v[3:4], v[3:4], -v[44:45]
	v_mul_f64 v[58:59], v[1:2], -v[30:31]
	v_mul_f64 v[60:61], v[1:2], v[28:29]
	v_fma_f64 v[32:33], v[32:33], v[24:25], v[16:17]
	v_fma_f64 v[26:27], v[34:35], v[24:25], v[26:27]
	v_mul_f64 v[62:63], v[1:2], -v[50:51]
	v_mul_f64 v[64:65], v[1:2], v[48:49]
	v_fma_f64 v[34:35], v[36:37], v[24:25], v[40:41]
	v_fma_f64 v[36:37], v[38:39], v[24:25], v[42:43]
	v_mul_f64 v[66:67], v[1:2], v[54:55]
	v_mul_f64 v[68:69], v[1:2], -v[52:53]
	v_fma_f64 v[1:2], -v[44:45], v[24:25], v[56:57]
	v_fma_f64 v[3:4], -v[46:47], v[24:25], v[3:4]
	v_fma_f64 v[24:25], v[28:29], v[18:19], v[58:59]
	v_fma_f64 v[28:29], v[30:31], v[18:19], v[60:61]
	v_add_f64 v[12:13], v[12:13], -v[32:33]
	v_add_f64 v[14:15], v[14:15], -v[26:27]
	v_fma_f64 v[30:31], v[48:49], v[18:19], v[62:63]
	v_fma_f64 v[38:39], v[50:51], v[18:19], v[64:65]
	v_add_f64 v[20:21], v[20:21], -v[34:35]
	v_add_f64 v[22:23], v[22:23], -v[36:37]
	v_fma_f64 v[16:17], -v[52:53], v[18:19], v[66:67]
	v_fma_f64 v[18:19], -v[54:55], v[18:19], v[68:69]
	v_add_f64 v[12:13], v[12:13], -v[24:25]
	v_add_f64 v[14:15], v[14:15], -v[28:29]
	;; [unrolled: 1-line block ×4, first 2 shown]
	ds_write_b128 v11, v[1:4]
	ds_write_b128 v8, v[16:19]
	;; [unrolled: 1-line block ×4, first 2 shown]
	s_waitcnt lgkmcnt(0)
	s_barrier
	s_cbranch_scc0 .LBB90_9
; %bb.10:
	s_movk_i32 s2, 0x80
	v_cmp_gt_u32_e32 vcc, s2, v0
	s_and_saveexec_b64 s[2:3], vcc
	s_cbranch_execz .LBB90_16
; %bb.11:
	v_or_b32_e32 v10, 0x80, v0
	v_cmp_le_i32_e32 vcc, s7, v10
                                        ; implicit-def: $vgpr3_vgpr4
	s_and_saveexec_b64 s[4:5], vcc
	s_xor_b64 s[4:5], exec, s[4:5]
	s_cbranch_execz .LBB90_13
; %bb.12:
	ds_read_b128 v[1:4], v9
	ds_read_b128 v[8:11], v6
                                        ; implicit-def: $vgpr6
	s_waitcnt lgkmcnt(1)
	v_mul_f64 v[12:13], v[3:4], v[3:4]
	v_fma_f64 v[12:13], v[1:2], v[1:2], v[12:13]
	v_div_scale_f64 v[14:15], s[6:7], v[12:13], v[12:13], 1.0
	v_rcp_f64_e32 v[16:17], v[14:15]
	v_fma_f64 v[18:19], -v[14:15], v[16:17], 1.0
	v_fma_f64 v[16:17], v[16:17], v[18:19], v[16:17]
	v_div_scale_f64 v[18:19], vcc, 1.0, v[12:13], 1.0
	v_fma_f64 v[20:21], -v[14:15], v[16:17], 1.0
	v_fma_f64 v[16:17], v[16:17], v[20:21], v[16:17]
	v_mul_f64 v[20:21], v[18:19], v[16:17]
	v_fma_f64 v[14:15], -v[14:15], v[20:21], v[18:19]
	v_div_fmas_f64 v[14:15], v[14:15], v[16:17], v[20:21]
	s_waitcnt lgkmcnt(0)
	v_mul_f64 v[16:17], v[3:4], v[10:11]
	v_mul_f64 v[3:4], v[3:4], -v[8:9]
	v_fma_f64 v[8:9], v[8:9], v[1:2], v[16:17]
	v_fma_f64 v[3:4], v[10:11], v[1:2], v[3:4]
                                        ; implicit-def: $vgpr11
                                        ; implicit-def: $vgpr10
	v_div_fixup_f64 v[12:13], v[14:15], v[12:13], 1.0
	v_mul_f64 v[1:2], v[12:13], v[8:9]
	v_mul_f64 v[3:4], v[12:13], v[3:4]
                                        ; implicit-def: $vgpr9
                                        ; implicit-def: $vgpr8
.LBB90_13:
	s_andn2_saveexec_b64 s[4:5], s[4:5]
	s_cbranch_execz .LBB90_15
; %bb.14:
	ds_read_b128 v[1:4], v9
	ds_read_b128 v[12:15], v9 offset:2048
	ds_read_b128 v[16:19], v11 offset:2048
	ds_read_b128 v[20:23], v8
	s_waitcnt lgkmcnt(2)
	v_mul_f64 v[7:8], v[3:4], v[12:13]
	v_mul_f64 v[26:27], v[3:4], -v[14:15]
	s_waitcnt lgkmcnt(0)
	v_mul_f64 v[24:25], v[18:19], v[20:21]
	v_mul_f64 v[28:29], v[18:19], -v[22:23]
	v_fma_f64 v[7:8], v[14:15], v[1:2], v[7:8]
	v_fma_f64 v[26:27], v[12:13], v[1:2], v[26:27]
	;; [unrolled: 1-line block ×4, first 2 shown]
	v_add_f64 v[30:31], v[7:8], -v[24:25]
	v_add_f64 v[28:29], v[26:27], -v[28:29]
	v_mul_f64 v[7:8], v[30:31], v[30:31]
	v_fma_f64 v[32:33], v[28:29], v[28:29], v[7:8]
	v_div_scale_f64 v[7:8], s[6:7], v[32:33], v[32:33], 1.0
	v_rcp_f64_e32 v[24:25], v[7:8]
	v_fma_f64 v[26:27], -v[7:8], v[24:25], 1.0
	v_fma_f64 v[24:25], v[24:25], v[26:27], v[24:25]
	v_div_scale_f64 v[26:27], vcc, 1.0, v[32:33], 1.0
	v_fma_f64 v[34:35], -v[7:8], v[24:25], 1.0
	v_fma_f64 v[34:35], v[24:25], v[34:35], v[24:25]
	v_mul_f64 v[36:37], v[26:27], v[34:35]
	v_fma_f64 v[38:39], -v[7:8], v[36:37], v[26:27]
	ds_read_b128 v[24:27], v6
	ds_read_b128 v[6:9], v6 offset:2048
	s_waitcnt lgkmcnt(1)
	v_mul_f64 v[46:47], v[18:19], -v[26:27]
	s_waitcnt lgkmcnt(0)
	v_mul_f64 v[40:41], v[8:9], -v[22:23]
	v_mul_f64 v[42:43], v[20:21], v[8:9]
	v_div_fmas_f64 v[34:35], v[38:39], v[34:35], v[36:37]
	v_mul_f64 v[36:37], v[26:27], -v[14:15]
	v_mul_f64 v[38:39], v[12:13], v[26:27]
	v_mul_f64 v[44:45], v[3:4], -v[8:9]
	v_mul_f64 v[3:4], v[3:4], v[6:7]
	v_mul_f64 v[18:19], v[18:19], v[24:25]
	v_fma_f64 v[20:21], v[20:21], v[6:7], v[40:41]
	v_fma_f64 v[22:23], v[22:23], v[6:7], v[42:43]
	;; [unrolled: 1-line block ×4, first 2 shown]
	v_fma_f64 v[36:37], v[28:29], 0, -v[30:31]
	v_fma_f64 v[6:7], v[6:7], v[1:2], v[44:45]
	v_fma_f64 v[1:2], v[8:9], v[1:2], v[3:4]
	;; [unrolled: 1-line block ×4, first 2 shown]
	v_div_fixup_f64 v[32:33], v[34:35], v[32:33], 1.0
	v_fma_f64 v[16:17], v[30:31], 0, v[28:29]
	v_add_f64 v[14:15], v[14:15], -v[22:23]
	v_add_f64 v[12:13], v[12:13], -v[20:21]
	;; [unrolled: 1-line block ×4, first 2 shown]
	v_mul_f64 v[18:19], v[36:37], v[32:33]
	v_mul_f64 v[16:17], v[16:17], v[32:33]
	v_mul_f64 v[6:7], v[18:19], -v[14:15]
	v_mul_f64 v[8:9], v[18:19], v[12:13]
	v_mul_f64 v[20:21], v[18:19], -v[3:4]
	v_mul_f64 v[18:19], v[18:19], v[1:2]
	v_fma_f64 v[6:7], v[12:13], v[16:17], v[6:7]
	v_fma_f64 v[8:9], v[14:15], v[16:17], v[8:9]
	;; [unrolled: 1-line block ×4, first 2 shown]
	ds_write_b128 v11, v[6:9] offset:12288
	v_mov_b32_e32 v7, v10
.LBB90_15:
	s_or_b64 exec, exec, s[4:5]
	v_lshlrev_b32_e32 v6, 4, v7
	ds_write_b128 v6, v[1:4] offset:12288
.LBB90_16:
	s_or_b64 exec, exec, s[2:3]
	s_waitcnt lgkmcnt(0)
	s_barrier
	s_and_saveexec_b64 s[2:3], s[0:1]
	s_cbranch_execz .LBB90_18
; %bb.17:
	v_mov_b32_e32 v1, 0x3000
	v_lshl_or_b32 v0, v0, 4, v1
	v_mov_b32_e32 v6, 0
	ds_read2_b64 v[0:3], v0 offset1:1
	v_lshlrev_b64 v[4:5], 4, v[5:6]
	v_mov_b32_e32 v6, s9
	v_add_co_u32_e32 v4, vcc, s8, v4
	v_addc_co_u32_e32 v5, vcc, v6, v5, vcc
	s_waitcnt lgkmcnt(0)
	global_store_dwordx4 v[4:5], v[0:3], off
.LBB90_18:
	s_endpgm
	.section	.rodata,"a",@progbits
	.p2align	6, 0x0
	.amdhsa_kernel _ZN9rocsparseL30gtsv_nopivot_pcr_shared_kernelILj256E21rocsparse_complex_numIdEEEviiiPKT0_S5_S5_PS3_
		.amdhsa_group_segment_fixed_size 20480
		.amdhsa_private_segment_fixed_size 0
		.amdhsa_kernarg_size 48
		.amdhsa_user_sgpr_count 6
		.amdhsa_user_sgpr_private_segment_buffer 1
		.amdhsa_user_sgpr_dispatch_ptr 0
		.amdhsa_user_sgpr_queue_ptr 0
		.amdhsa_user_sgpr_kernarg_segment_ptr 1
		.amdhsa_user_sgpr_dispatch_id 0
		.amdhsa_user_sgpr_flat_scratch_init 0
		.amdhsa_user_sgpr_private_segment_size 0
		.amdhsa_uses_dynamic_stack 0
		.amdhsa_system_sgpr_private_segment_wavefront_offset 0
		.amdhsa_system_sgpr_workgroup_id_x 1
		.amdhsa_system_sgpr_workgroup_id_y 0
		.amdhsa_system_sgpr_workgroup_id_z 0
		.amdhsa_system_sgpr_workgroup_info 0
		.amdhsa_system_vgpr_workitem_id 0
		.amdhsa_next_free_vgpr 70
		.amdhsa_next_free_sgpr 98
		.amdhsa_reserve_vcc 1
		.amdhsa_reserve_flat_scratch 0
		.amdhsa_float_round_mode_32 0
		.amdhsa_float_round_mode_16_64 0
		.amdhsa_float_denorm_mode_32 3
		.amdhsa_float_denorm_mode_16_64 3
		.amdhsa_dx10_clamp 1
		.amdhsa_ieee_mode 1
		.amdhsa_fp16_overflow 0
		.amdhsa_exception_fp_ieee_invalid_op 0
		.amdhsa_exception_fp_denorm_src 0
		.amdhsa_exception_fp_ieee_div_zero 0
		.amdhsa_exception_fp_ieee_overflow 0
		.amdhsa_exception_fp_ieee_underflow 0
		.amdhsa_exception_fp_ieee_inexact 0
		.amdhsa_exception_int_div_zero 0
	.end_amdhsa_kernel
	.section	.text._ZN9rocsparseL30gtsv_nopivot_pcr_shared_kernelILj256E21rocsparse_complex_numIdEEEviiiPKT0_S5_S5_PS3_,"axG",@progbits,_ZN9rocsparseL30gtsv_nopivot_pcr_shared_kernelILj256E21rocsparse_complex_numIdEEEviiiPKT0_S5_S5_PS3_,comdat
.Lfunc_end90:
	.size	_ZN9rocsparseL30gtsv_nopivot_pcr_shared_kernelILj256E21rocsparse_complex_numIdEEEviiiPKT0_S5_S5_PS3_, .Lfunc_end90-_ZN9rocsparseL30gtsv_nopivot_pcr_shared_kernelILj256E21rocsparse_complex_numIdEEEviiiPKT0_S5_S5_PS3_
                                        ; -- End function
	.set _ZN9rocsparseL30gtsv_nopivot_pcr_shared_kernelILj256E21rocsparse_complex_numIdEEEviiiPKT0_S5_S5_PS3_.num_vgpr, 70
	.set _ZN9rocsparseL30gtsv_nopivot_pcr_shared_kernelILj256E21rocsparse_complex_numIdEEEviiiPKT0_S5_S5_PS3_.num_agpr, 0
	.set _ZN9rocsparseL30gtsv_nopivot_pcr_shared_kernelILj256E21rocsparse_complex_numIdEEEviiiPKT0_S5_S5_PS3_.numbered_sgpr, 12
	.set _ZN9rocsparseL30gtsv_nopivot_pcr_shared_kernelILj256E21rocsparse_complex_numIdEEEviiiPKT0_S5_S5_PS3_.num_named_barrier, 0
	.set _ZN9rocsparseL30gtsv_nopivot_pcr_shared_kernelILj256E21rocsparse_complex_numIdEEEviiiPKT0_S5_S5_PS3_.private_seg_size, 0
	.set _ZN9rocsparseL30gtsv_nopivot_pcr_shared_kernelILj256E21rocsparse_complex_numIdEEEviiiPKT0_S5_S5_PS3_.uses_vcc, 1
	.set _ZN9rocsparseL30gtsv_nopivot_pcr_shared_kernelILj256E21rocsparse_complex_numIdEEEviiiPKT0_S5_S5_PS3_.uses_flat_scratch, 0
	.set _ZN9rocsparseL30gtsv_nopivot_pcr_shared_kernelILj256E21rocsparse_complex_numIdEEEviiiPKT0_S5_S5_PS3_.has_dyn_sized_stack, 0
	.set _ZN9rocsparseL30gtsv_nopivot_pcr_shared_kernelILj256E21rocsparse_complex_numIdEEEviiiPKT0_S5_S5_PS3_.has_recursion, 0
	.set _ZN9rocsparseL30gtsv_nopivot_pcr_shared_kernelILj256E21rocsparse_complex_numIdEEEviiiPKT0_S5_S5_PS3_.has_indirect_call, 0
	.section	.AMDGPU.csdata,"",@progbits
; Kernel info:
; codeLenInByte = 1932
; TotalNumSgprs: 16
; NumVgprs: 70
; ScratchSize: 0
; MemoryBound: 1
; FloatMode: 240
; IeeeMode: 1
; LDSByteSize: 20480 bytes/workgroup (compile time only)
; SGPRBlocks: 12
; VGPRBlocks: 17
; NumSGPRsForWavesPerEU: 102
; NumVGPRsForWavesPerEU: 70
; Occupancy: 3
; WaveLimiterHint : 0
; COMPUTE_PGM_RSRC2:SCRATCH_EN: 0
; COMPUTE_PGM_RSRC2:USER_SGPR: 6
; COMPUTE_PGM_RSRC2:TRAP_HANDLER: 0
; COMPUTE_PGM_RSRC2:TGID_X_EN: 1
; COMPUTE_PGM_RSRC2:TGID_Y_EN: 0
; COMPUTE_PGM_RSRC2:TGID_Z_EN: 0
; COMPUTE_PGM_RSRC2:TIDIG_COMP_CNT: 0
	.section	.text._ZN9rocsparseL30gtsv_nopivot_pcr_shared_kernelILj512E21rocsparse_complex_numIdEEEviiiPKT0_S5_S5_PS3_,"axG",@progbits,_ZN9rocsparseL30gtsv_nopivot_pcr_shared_kernelILj512E21rocsparse_complex_numIdEEEviiiPKT0_S5_S5_PS3_,comdat
	.globl	_ZN9rocsparseL30gtsv_nopivot_pcr_shared_kernelILj512E21rocsparse_complex_numIdEEEviiiPKT0_S5_S5_PS3_ ; -- Begin function _ZN9rocsparseL30gtsv_nopivot_pcr_shared_kernelILj512E21rocsparse_complex_numIdEEEviiiPKT0_S5_S5_PS3_
	.p2align	8
	.type	_ZN9rocsparseL30gtsv_nopivot_pcr_shared_kernelILj512E21rocsparse_complex_numIdEEEviiiPKT0_S5_S5_PS3_,@function
_ZN9rocsparseL30gtsv_nopivot_pcr_shared_kernelILj512E21rocsparse_complex_numIdEEEviiiPKT0_S5_S5_PS3_: ; @_ZN9rocsparseL30gtsv_nopivot_pcr_shared_kernelILj512E21rocsparse_complex_numIdEEEviiiPKT0_S5_S5_PS3_
; %bb.0:
	s_load_dword s7, s[4:5], 0x0
	v_mov_b32_e32 v3, 0
	v_mov_b32_e32 v7, 0
	;; [unrolled: 1-line block ×5, first 2 shown]
	s_waitcnt lgkmcnt(0)
	v_cmp_gt_i32_e64 s[0:1], s7, v0
	v_mov_b32_e32 v10, 0
	v_lshlrev_b32_e32 v11, 4, v0
	s_and_saveexec_b64 s[2:3], s[0:1]
	s_cbranch_execz .LBB91_2
; %bb.1:
	s_load_dwordx2 s[8:9], s[4:5], 0x10
	s_waitcnt lgkmcnt(0)
	global_load_dwordx4 v[7:10], v11, s[8:9]
.LBB91_2:
	s_or_b64 exec, exec, s[2:3]
	v_mov_b32_e32 v5, 0
	v_mov_b32_e32 v6, 0
	s_waitcnt vmcnt(0)
	ds_write_b128 v11, v[7:10]
	s_and_saveexec_b64 s[2:3], s[0:1]
	s_cbranch_execz .LBB91_4
; %bb.3:
	s_load_dwordx2 s[8:9], s[4:5], 0x18
	s_waitcnt lgkmcnt(0)
	global_load_dwordx4 v[3:6], v11, s[8:9]
.LBB91_4:
	s_or_b64 exec, exec, s[2:3]
	s_load_dwordx2 s[8:9], s[4:5], 0x28
	v_mov_b32_e32 v1, 0
	v_mov_b32_e32 v7, 0
	;; [unrolled: 1-line block ×6, first 2 shown]
	s_waitcnt vmcnt(0)
	ds_write_b128 v11, v[3:6] offset:8192
	s_and_saveexec_b64 s[2:3], s[0:1]
	s_cbranch_execz .LBB91_6
; %bb.5:
	s_load_dwordx2 s[10:11], s[4:5], 0x20
	s_waitcnt lgkmcnt(0)
	global_load_dwordx4 v[7:10], v11, s[10:11]
.LBB91_6:
	s_or_b64 exec, exec, s[2:3]
	s_load_dword s2, s[4:5], 0x8
	v_mov_b32_e32 v3, 0
	v_mov_b32_e32 v4, 0
	s_waitcnt vmcnt(0)
	ds_write_b128 v11, v[7:10] offset:16384
	s_waitcnt lgkmcnt(0)
	s_mul_i32 s2, s2, s6
	v_add_u32_e32 v5, s2, v0
	s_and_saveexec_b64 s[2:3], s[0:1]
	s_cbranch_execz .LBB91_8
; %bb.7:
	v_mov_b32_e32 v6, 0
	v_lshlrev_b64 v[1:2], 4, v[5:6]
	v_mov_b32_e32 v3, s9
	v_add_co_u32_e32 v1, vcc, s8, v1
	v_addc_co_u32_e32 v2, vcc, v3, v2, vcc
	global_load_dwordx4 v[1:4], v[1:2], off
.LBB91_8:
	s_or_b64 exec, exec, s[2:3]
	v_mov_b32_e32 v7, v0
	v_or_b32_e32 v9, 0x2000, v11
	v_or_b32_e32 v8, 0x4000, v11
	;; [unrolled: 1-line block ×3, first 2 shown]
	s_add_i32 s4, s7, -1
	s_mov_b32 s5, 1
	s_mov_b32 s6, 8
	s_waitcnt vmcnt(0)
	ds_write_b128 v11, v[1:4] offset:32768
	s_waitcnt lgkmcnt(0)
	s_barrier
.LBB91_9:                               ; =>This Inner Loop Header: Depth=1
	v_subrev_u32_e32 v24, s5, v0
	v_add_u32_e32 v10, s5, v0
	v_max_i32_e32 v24, 0, v24
	v_min_i32_e32 v10, s4, v10
	v_lshlrev_b32_e32 v44, 4, v24
	ds_read_b128 v[1:4], v11
	ds_read_b128 v[12:15], v9
	;; [unrolled: 1-line block ×4, first 2 shown]
	v_lshlrev_b32_e32 v10, 4, v10
	ds_read_b128 v[24:27], v44 offset:8192
	ds_read_b128 v[28:31], v44 offset:16384
	ds_read_b128 v[32:35], v10
	ds_read_b128 v[36:39], v10 offset:32768
	ds_read_b128 v[40:43], v44 offset:32768
	ds_read_b128 v[44:47], v44
	ds_read_b128 v[48:51], v10 offset:8192
	ds_read_b128 v[52:55], v10 offset:16384
	s_waitcnt lgkmcnt(7)
	v_mul_f64 v[56:57], v[26:27], v[26:27]
	v_mul_f64 v[58:59], v[26:27], v[3:4]
	v_mul_f64 v[26:27], v[26:27], -v[1:2]
	s_waitcnt lgkmcnt(1)
	v_mul_f64 v[60:61], v[50:51], v[50:51]
	v_mul_f64 v[62:63], v[50:51], v[18:19]
	v_mul_f64 v[50:51], v[50:51], -v[16:17]
	s_lshl_b32 s5, s5, 1
	s_add_i32 s6, s6, -1
	v_fma_f64 v[56:57], v[24:25], v[24:25], v[56:57]
	v_fma_f64 v[1:2], v[1:2], v[24:25], v[58:59]
	;; [unrolled: 1-line block ×6, first 2 shown]
	s_cmp_eq_u32 s6, 0
	s_waitcnt lgkmcnt(0)
	v_div_scale_f64 v[26:27], s[2:3], v[56:57], v[56:57], 1.0
	v_div_scale_f64 v[50:51], vcc, 1.0, v[56:57], 1.0
	v_div_scale_f64 v[48:49], s[2:3], v[24:25], v[24:25], 1.0
	v_div_scale_f64 v[58:59], s[2:3], 1.0, v[24:25], 1.0
	s_barrier
	v_rcp_f64_e32 v[60:61], v[26:27]
	v_rcp_f64_e32 v[62:63], v[48:49]
	v_fma_f64 v[64:65], -v[26:27], v[60:61], 1.0
	v_fma_f64 v[66:67], -v[48:49], v[62:63], 1.0
	v_fma_f64 v[60:61], v[60:61], v[64:65], v[60:61]
	v_fma_f64 v[62:63], v[62:63], v[66:67], v[62:63]
	v_fma_f64 v[64:65], -v[26:27], v[60:61], 1.0
	v_fma_f64 v[66:67], -v[48:49], v[62:63], 1.0
	v_fma_f64 v[60:61], v[60:61], v[64:65], v[60:61]
	v_fma_f64 v[62:63], v[62:63], v[66:67], v[62:63]
	v_mul_f64 v[64:65], v[50:51], v[60:61]
	v_mul_f64 v[66:67], v[58:59], v[62:63]
	v_fma_f64 v[26:27], -v[26:27], v[64:65], v[50:51]
	v_fma_f64 v[48:49], -v[48:49], v[66:67], v[58:59]
	v_div_fmas_f64 v[26:27], v[26:27], v[60:61], v[64:65]
	s_mov_b64 vcc, s[2:3]
	v_div_fmas_f64 v[48:49], v[48:49], v[62:63], v[66:67]
	v_div_fixup_f64 v[26:27], v[26:27], v[56:57], 1.0
	v_div_fixup_f64 v[24:25], v[48:49], v[24:25], 1.0
	v_mul_f64 v[3:4], v[26:27], v[3:4]
	v_mul_f64 v[26:27], v[26:27], v[1:2]
	;; [unrolled: 1-line block ×4, first 2 shown]
	v_mul_f64 v[16:17], v[3:4], -v[30:31]
	v_mul_f64 v[24:25], v[3:4], v[28:29]
	v_mul_f64 v[48:49], v[3:4], -v[42:43]
	v_mul_f64 v[50:51], v[3:4], v[40:41]
	v_mul_f64 v[56:57], v[3:4], v[46:47]
	v_mul_f64 v[3:4], v[3:4], -v[44:45]
	v_mul_f64 v[58:59], v[1:2], -v[34:35]
	v_mul_f64 v[60:61], v[1:2], v[32:33]
	v_fma_f64 v[28:29], v[28:29], v[26:27], v[16:17]
	v_fma_f64 v[24:25], v[30:31], v[26:27], v[24:25]
	v_mul_f64 v[62:63], v[1:2], -v[38:39]
	v_mul_f64 v[64:65], v[1:2], v[36:37]
	v_fma_f64 v[30:31], v[40:41], v[26:27], v[48:49]
	v_fma_f64 v[40:41], v[42:43], v[26:27], v[50:51]
	v_mul_f64 v[66:67], v[1:2], v[54:55]
	v_mul_f64 v[68:69], v[1:2], -v[52:53]
	v_fma_f64 v[1:2], -v[44:45], v[26:27], v[56:57]
	v_fma_f64 v[3:4], -v[46:47], v[26:27], v[3:4]
	v_fma_f64 v[26:27], v[32:33], v[18:19], v[58:59]
	v_fma_f64 v[32:33], v[34:35], v[18:19], v[60:61]
	v_add_f64 v[12:13], v[12:13], -v[28:29]
	v_add_f64 v[14:15], v[14:15], -v[24:25]
	v_fma_f64 v[34:35], v[36:37], v[18:19], v[62:63]
	v_fma_f64 v[36:37], v[38:39], v[18:19], v[64:65]
	v_add_f64 v[20:21], v[20:21], -v[30:31]
	v_add_f64 v[22:23], v[22:23], -v[40:41]
	v_fma_f64 v[16:17], -v[52:53], v[18:19], v[66:67]
	v_fma_f64 v[18:19], -v[54:55], v[18:19], v[68:69]
	v_add_f64 v[12:13], v[12:13], -v[26:27]
	v_add_f64 v[14:15], v[14:15], -v[32:33]
	;; [unrolled: 1-line block ×4, first 2 shown]
	ds_write_b128 v11, v[1:4]
	ds_write_b128 v8, v[16:19]
	;; [unrolled: 1-line block ×4, first 2 shown]
	s_waitcnt lgkmcnt(0)
	s_barrier
	s_cbranch_scc0 .LBB91_9
; %bb.10:
	s_movk_i32 s2, 0x100
	v_cmp_gt_u32_e32 vcc, s2, v0
	s_and_saveexec_b64 s[2:3], vcc
	s_cbranch_execz .LBB91_16
; %bb.11:
	v_or_b32_e32 v10, 0x100, v0
	v_cmp_le_i32_e32 vcc, s7, v10
                                        ; implicit-def: $vgpr3_vgpr4
	s_and_saveexec_b64 s[4:5], vcc
	s_xor_b64 s[4:5], exec, s[4:5]
	s_cbranch_execz .LBB91_13
; %bb.12:
	ds_read_b128 v[1:4], v9
	ds_read_b128 v[8:11], v6
                                        ; implicit-def: $vgpr6
	s_waitcnt lgkmcnt(1)
	v_mul_f64 v[12:13], v[3:4], v[3:4]
	v_fma_f64 v[12:13], v[1:2], v[1:2], v[12:13]
	v_div_scale_f64 v[14:15], s[6:7], v[12:13], v[12:13], 1.0
	v_rcp_f64_e32 v[16:17], v[14:15]
	v_fma_f64 v[18:19], -v[14:15], v[16:17], 1.0
	v_fma_f64 v[16:17], v[16:17], v[18:19], v[16:17]
	v_div_scale_f64 v[18:19], vcc, 1.0, v[12:13], 1.0
	v_fma_f64 v[20:21], -v[14:15], v[16:17], 1.0
	v_fma_f64 v[16:17], v[16:17], v[20:21], v[16:17]
	v_mul_f64 v[20:21], v[18:19], v[16:17]
	v_fma_f64 v[14:15], -v[14:15], v[20:21], v[18:19]
	v_div_fmas_f64 v[14:15], v[14:15], v[16:17], v[20:21]
	s_waitcnt lgkmcnt(0)
	v_mul_f64 v[16:17], v[3:4], v[10:11]
	v_mul_f64 v[3:4], v[3:4], -v[8:9]
	v_fma_f64 v[8:9], v[8:9], v[1:2], v[16:17]
	v_fma_f64 v[3:4], v[10:11], v[1:2], v[3:4]
                                        ; implicit-def: $vgpr11
                                        ; implicit-def: $vgpr10
	v_div_fixup_f64 v[12:13], v[14:15], v[12:13], 1.0
	v_mul_f64 v[1:2], v[12:13], v[8:9]
	v_mul_f64 v[3:4], v[12:13], v[3:4]
                                        ; implicit-def: $vgpr9
                                        ; implicit-def: $vgpr8
.LBB91_13:
	s_andn2_saveexec_b64 s[4:5], s[4:5]
	s_cbranch_execz .LBB91_15
; %bb.14:
	ds_read_b128 v[1:4], v9
	ds_read_b128 v[12:15], v9 offset:4096
	ds_read_b128 v[16:19], v11 offset:4096
	ds_read_b128 v[20:23], v8
	s_waitcnt lgkmcnt(2)
	v_mul_f64 v[7:8], v[3:4], v[12:13]
	v_mul_f64 v[26:27], v[3:4], -v[14:15]
	s_waitcnt lgkmcnt(0)
	v_mul_f64 v[24:25], v[18:19], v[20:21]
	v_mul_f64 v[28:29], v[18:19], -v[22:23]
	v_fma_f64 v[7:8], v[14:15], v[1:2], v[7:8]
	v_fma_f64 v[26:27], v[12:13], v[1:2], v[26:27]
	;; [unrolled: 1-line block ×4, first 2 shown]
	v_add_f64 v[30:31], v[7:8], -v[24:25]
	v_add_f64 v[28:29], v[26:27], -v[28:29]
	v_mul_f64 v[7:8], v[30:31], v[30:31]
	v_fma_f64 v[32:33], v[28:29], v[28:29], v[7:8]
	v_div_scale_f64 v[7:8], s[6:7], v[32:33], v[32:33], 1.0
	v_rcp_f64_e32 v[24:25], v[7:8]
	v_fma_f64 v[26:27], -v[7:8], v[24:25], 1.0
	v_fma_f64 v[24:25], v[24:25], v[26:27], v[24:25]
	v_div_scale_f64 v[26:27], vcc, 1.0, v[32:33], 1.0
	v_fma_f64 v[34:35], -v[7:8], v[24:25], 1.0
	v_fma_f64 v[34:35], v[24:25], v[34:35], v[24:25]
	v_mul_f64 v[36:37], v[26:27], v[34:35]
	v_fma_f64 v[38:39], -v[7:8], v[36:37], v[26:27]
	ds_read_b128 v[24:27], v6
	ds_read_b128 v[6:9], v6 offset:4096
	s_waitcnt lgkmcnt(1)
	v_mul_f64 v[46:47], v[18:19], -v[26:27]
	s_waitcnt lgkmcnt(0)
	v_mul_f64 v[40:41], v[8:9], -v[22:23]
	v_mul_f64 v[42:43], v[20:21], v[8:9]
	v_div_fmas_f64 v[34:35], v[38:39], v[34:35], v[36:37]
	v_mul_f64 v[36:37], v[26:27], -v[14:15]
	v_mul_f64 v[38:39], v[12:13], v[26:27]
	v_mul_f64 v[44:45], v[3:4], -v[8:9]
	v_mul_f64 v[3:4], v[3:4], v[6:7]
	v_mul_f64 v[18:19], v[18:19], v[24:25]
	v_fma_f64 v[20:21], v[20:21], v[6:7], v[40:41]
	v_fma_f64 v[22:23], v[22:23], v[6:7], v[42:43]
	;; [unrolled: 1-line block ×4, first 2 shown]
	v_fma_f64 v[36:37], v[28:29], 0, -v[30:31]
	v_fma_f64 v[6:7], v[6:7], v[1:2], v[44:45]
	v_fma_f64 v[1:2], v[8:9], v[1:2], v[3:4]
	;; [unrolled: 1-line block ×4, first 2 shown]
	v_div_fixup_f64 v[32:33], v[34:35], v[32:33], 1.0
	v_fma_f64 v[16:17], v[30:31], 0, v[28:29]
	v_add_f64 v[14:15], v[14:15], -v[22:23]
	v_add_f64 v[12:13], v[12:13], -v[20:21]
	;; [unrolled: 1-line block ×4, first 2 shown]
	v_mul_f64 v[18:19], v[36:37], v[32:33]
	v_mul_f64 v[16:17], v[16:17], v[32:33]
	v_mul_f64 v[6:7], v[18:19], -v[14:15]
	v_mul_f64 v[8:9], v[18:19], v[12:13]
	v_mul_f64 v[20:21], v[18:19], -v[3:4]
	v_mul_f64 v[18:19], v[18:19], v[1:2]
	v_fma_f64 v[6:7], v[12:13], v[16:17], v[6:7]
	v_fma_f64 v[8:9], v[14:15], v[16:17], v[8:9]
	;; [unrolled: 1-line block ×4, first 2 shown]
	ds_write_b128 v11, v[6:9] offset:24576
	v_mov_b32_e32 v7, v10
.LBB91_15:
	s_or_b64 exec, exec, s[4:5]
	v_lshlrev_b32_e32 v6, 4, v7
	ds_write_b128 v6, v[1:4] offset:24576
.LBB91_16:
	s_or_b64 exec, exec, s[2:3]
	s_waitcnt lgkmcnt(0)
	s_barrier
	s_and_saveexec_b64 s[2:3], s[0:1]
	s_cbranch_execz .LBB91_18
; %bb.17:
	v_mov_b32_e32 v1, 0x6000
	v_lshl_or_b32 v0, v0, 4, v1
	v_mov_b32_e32 v6, 0
	ds_read2_b64 v[0:3], v0 offset1:1
	v_lshlrev_b64 v[4:5], 4, v[5:6]
	v_mov_b32_e32 v6, s9
	v_add_co_u32_e32 v4, vcc, s8, v4
	v_addc_co_u32_e32 v5, vcc, v6, v5, vcc
	s_waitcnt lgkmcnt(0)
	global_store_dwordx4 v[4:5], v[0:3], off
.LBB91_18:
	s_endpgm
	.section	.rodata,"a",@progbits
	.p2align	6, 0x0
	.amdhsa_kernel _ZN9rocsparseL30gtsv_nopivot_pcr_shared_kernelILj512E21rocsparse_complex_numIdEEEviiiPKT0_S5_S5_PS3_
		.amdhsa_group_segment_fixed_size 40960
		.amdhsa_private_segment_fixed_size 0
		.amdhsa_kernarg_size 48
		.amdhsa_user_sgpr_count 6
		.amdhsa_user_sgpr_private_segment_buffer 1
		.amdhsa_user_sgpr_dispatch_ptr 0
		.amdhsa_user_sgpr_queue_ptr 0
		.amdhsa_user_sgpr_kernarg_segment_ptr 1
		.amdhsa_user_sgpr_dispatch_id 0
		.amdhsa_user_sgpr_flat_scratch_init 0
		.amdhsa_user_sgpr_private_segment_size 0
		.amdhsa_uses_dynamic_stack 0
		.amdhsa_system_sgpr_private_segment_wavefront_offset 0
		.amdhsa_system_sgpr_workgroup_id_x 1
		.amdhsa_system_sgpr_workgroup_id_y 0
		.amdhsa_system_sgpr_workgroup_id_z 0
		.amdhsa_system_sgpr_workgroup_info 0
		.amdhsa_system_vgpr_workitem_id 0
		.amdhsa_next_free_vgpr 85
		.amdhsa_next_free_sgpr 98
		.amdhsa_reserve_vcc 1
		.amdhsa_reserve_flat_scratch 0
		.amdhsa_float_round_mode_32 0
		.amdhsa_float_round_mode_16_64 0
		.amdhsa_float_denorm_mode_32 3
		.amdhsa_float_denorm_mode_16_64 3
		.amdhsa_dx10_clamp 1
		.amdhsa_ieee_mode 1
		.amdhsa_fp16_overflow 0
		.amdhsa_exception_fp_ieee_invalid_op 0
		.amdhsa_exception_fp_denorm_src 0
		.amdhsa_exception_fp_ieee_div_zero 0
		.amdhsa_exception_fp_ieee_overflow 0
		.amdhsa_exception_fp_ieee_underflow 0
		.amdhsa_exception_fp_ieee_inexact 0
		.amdhsa_exception_int_div_zero 0
	.end_amdhsa_kernel
	.section	.text._ZN9rocsparseL30gtsv_nopivot_pcr_shared_kernelILj512E21rocsparse_complex_numIdEEEviiiPKT0_S5_S5_PS3_,"axG",@progbits,_ZN9rocsparseL30gtsv_nopivot_pcr_shared_kernelILj512E21rocsparse_complex_numIdEEEviiiPKT0_S5_S5_PS3_,comdat
.Lfunc_end91:
	.size	_ZN9rocsparseL30gtsv_nopivot_pcr_shared_kernelILj512E21rocsparse_complex_numIdEEEviiiPKT0_S5_S5_PS3_, .Lfunc_end91-_ZN9rocsparseL30gtsv_nopivot_pcr_shared_kernelILj512E21rocsparse_complex_numIdEEEviiiPKT0_S5_S5_PS3_
                                        ; -- End function
	.set _ZN9rocsparseL30gtsv_nopivot_pcr_shared_kernelILj512E21rocsparse_complex_numIdEEEviiiPKT0_S5_S5_PS3_.num_vgpr, 70
	.set _ZN9rocsparseL30gtsv_nopivot_pcr_shared_kernelILj512E21rocsparse_complex_numIdEEEviiiPKT0_S5_S5_PS3_.num_agpr, 0
	.set _ZN9rocsparseL30gtsv_nopivot_pcr_shared_kernelILj512E21rocsparse_complex_numIdEEEviiiPKT0_S5_S5_PS3_.numbered_sgpr, 12
	.set _ZN9rocsparseL30gtsv_nopivot_pcr_shared_kernelILj512E21rocsparse_complex_numIdEEEviiiPKT0_S5_S5_PS3_.num_named_barrier, 0
	.set _ZN9rocsparseL30gtsv_nopivot_pcr_shared_kernelILj512E21rocsparse_complex_numIdEEEviiiPKT0_S5_S5_PS3_.private_seg_size, 0
	.set _ZN9rocsparseL30gtsv_nopivot_pcr_shared_kernelILj512E21rocsparse_complex_numIdEEEviiiPKT0_S5_S5_PS3_.uses_vcc, 1
	.set _ZN9rocsparseL30gtsv_nopivot_pcr_shared_kernelILj512E21rocsparse_complex_numIdEEEviiiPKT0_S5_S5_PS3_.uses_flat_scratch, 0
	.set _ZN9rocsparseL30gtsv_nopivot_pcr_shared_kernelILj512E21rocsparse_complex_numIdEEEviiiPKT0_S5_S5_PS3_.has_dyn_sized_stack, 0
	.set _ZN9rocsparseL30gtsv_nopivot_pcr_shared_kernelILj512E21rocsparse_complex_numIdEEEviiiPKT0_S5_S5_PS3_.has_recursion, 0
	.set _ZN9rocsparseL30gtsv_nopivot_pcr_shared_kernelILj512E21rocsparse_complex_numIdEEEviiiPKT0_S5_S5_PS3_.has_indirect_call, 0
	.section	.AMDGPU.csdata,"",@progbits
; Kernel info:
; codeLenInByte = 1932
; TotalNumSgprs: 16
; NumVgprs: 70
; ScratchSize: 0
; MemoryBound: 1
; FloatMode: 240
; IeeeMode: 1
; LDSByteSize: 40960 bytes/workgroup (compile time only)
; SGPRBlocks: 12
; VGPRBlocks: 21
; NumSGPRsForWavesPerEU: 102
; NumVGPRsForWavesPerEU: 85
; Occupancy: 2
; WaveLimiterHint : 0
; COMPUTE_PGM_RSRC2:SCRATCH_EN: 0
; COMPUTE_PGM_RSRC2:USER_SGPR: 6
; COMPUTE_PGM_RSRC2:TRAP_HANDLER: 0
; COMPUTE_PGM_RSRC2:TGID_X_EN: 1
; COMPUTE_PGM_RSRC2:TGID_Y_EN: 0
; COMPUTE_PGM_RSRC2:TGID_Z_EN: 0
; COMPUTE_PGM_RSRC2:TIDIG_COMP_CNT: 0
	.section	.text._ZN9rocsparseL37gtsv_nopivot_pcr_pow2_stage1_n_kernelILj256E21rocsparse_complex_numIdEEEviiiiPKT0_S5_S5_S5_PS3_S6_S6_S6_,"axG",@progbits,_ZN9rocsparseL37gtsv_nopivot_pcr_pow2_stage1_n_kernelILj256E21rocsparse_complex_numIdEEEviiiiPKT0_S5_S5_S5_PS3_S6_S6_S6_,comdat
	.globl	_ZN9rocsparseL37gtsv_nopivot_pcr_pow2_stage1_n_kernelILj256E21rocsparse_complex_numIdEEEviiiiPKT0_S5_S5_S5_PS3_S6_S6_S6_ ; -- Begin function _ZN9rocsparseL37gtsv_nopivot_pcr_pow2_stage1_n_kernelILj256E21rocsparse_complex_numIdEEEviiiiPKT0_S5_S5_S5_PS3_S6_S6_S6_
	.p2align	8
	.type	_ZN9rocsparseL37gtsv_nopivot_pcr_pow2_stage1_n_kernelILj256E21rocsparse_complex_numIdEEEviiiiPKT0_S5_S5_S5_PS3_S6_S6_S6_,@function
_ZN9rocsparseL37gtsv_nopivot_pcr_pow2_stage1_n_kernelILj256E21rocsparse_complex_numIdEEEviiiiPKT0_S5_S5_S5_PS3_S6_S6_S6_: ; @_ZN9rocsparseL37gtsv_nopivot_pcr_pow2_stage1_n_kernelILj256E21rocsparse_complex_numIdEEEviiiiPKT0_S5_S5_S5_PS3_S6_S6_S6_
; %bb.0:
	s_load_dwordx2 s[0:1], s[4:5], 0x0
	s_load_dwordx8 s[8:15], s[4:5], 0x10
	v_lshl_or_b32 v11, s6, 8, v0
	v_ashrrev_i32_e32 v12, 31, v11
	v_mov_b32_e32 v3, 0
	s_waitcnt lgkmcnt(0)
	v_subrev_u32_e32 v0, s0, v11
	v_max_i32_e32 v2, 0, v0
	v_lshlrev_b64 v[0:1], 4, v[11:12]
	v_mov_b32_e32 v32, s9
	v_add_co_u32_e32 v12, vcc, s8, v0
	v_lshlrev_b64 v[14:15], 4, v[2:3]
	v_addc_co_u32_e32 v13, vcc, v32, v1, vcc
	v_mov_b32_e32 v2, s11
	v_add_co_u32_e32 v16, vcc, s10, v14
	v_addc_co_u32_e32 v17, vcc, v2, v15, vcc
	global_load_dwordx4 v[3:6], v[12:13], off
	global_load_dwordx4 v[7:10], v[16:17], off
	v_mov_b32_e32 v33, s13
	s_add_i32 s9, s1, -1
	s_waitcnt vmcnt(0)
	v_mul_f64 v[12:13], v[9:10], v[5:6]
	v_mul_f64 v[16:17], v[9:10], -v[3:4]
	v_fma_f64 v[12:13], v[3:4], v[7:8], v[12:13]
	v_mul_f64 v[3:4], v[9:10], v[9:10]
	v_fma_f64 v[16:17], v[5:6], v[7:8], v[16:17]
	v_fma_f64 v[7:8], v[7:8], v[7:8], v[3:4]
	v_div_scale_f64 v[3:4], s[2:3], v[7:8], v[7:8], 1.0
	s_mov_b32 s3, 0
	s_mul_i32 s2, s1, s7
	s_lshl_b64 s[24:25], s[2:3], 4
	v_rcp_f64_e32 v[5:6], v[3:4]
	v_fma_f64 v[9:10], -v[3:4], v[5:6], 1.0
	v_fma_f64 v[5:6], v[5:6], v[9:10], v[5:6]
	v_fma_f64 v[9:10], -v[3:4], v[5:6], 1.0
	v_fma_f64 v[5:6], v[5:6], v[9:10], v[5:6]
	v_div_scale_f64 v[9:10], vcc, 1.0, v[7:8], 1.0
	v_mul_f64 v[18:19], v[9:10], v[5:6]
	v_fma_f64 v[3:4], -v[3:4], v[18:19], v[9:10]
	s_nop 1
	v_div_fmas_f64 v[9:10], v[3:4], v[5:6], v[18:19]
	v_add_co_u32_e32 v3, vcc, s8, v14
	v_addc_co_u32_e32 v4, vcc, v32, v15, vcc
	global_load_dwordx4 v[3:6], v[3:4], off
	v_div_fixup_f64 v[7:8], v[9:10], v[7:8], 1.0
	v_mul_f64 v[16:17], v[7:8], v[16:17]
	v_mul_f64 v[12:13], v[7:8], v[12:13]
	s_waitcnt vmcnt(0)
	v_mul_f64 v[7:8], v[16:17], v[5:6]
	v_mul_f64 v[9:10], v[16:17], -v[3:4]
	v_fma_f64 v[3:4], -v[3:4], v[12:13], v[7:8]
	v_add_co_u32_e32 v7, vcc, s12, v14
	v_addc_co_u32_e32 v8, vcc, v33, v15, vcc
	v_fma_f64 v[5:6], -v[5:6], v[12:13], v[9:10]
	global_load_dwordx4 v[7:10], v[7:8], off
	s_load_dword s6, s[4:5], 0xc
	s_load_dwordx8 s[16:23], s[4:5], 0x30
	s_waitcnt lgkmcnt(0)
	s_mul_i32 s2, s6, s7
	s_add_u32 s5, s22, s24
	s_addc_u32 s4, s23, s25
	s_lshl_b64 s[2:3], s[2:3], 4
	s_add_u32 s1, s14, s2
	s_addc_u32 s2, s15, s3
	s_waitcnt vmcnt(0)
	v_mul_f64 v[18:19], v[16:17], -v[9:10]
	v_fma_f64 v[18:19], v[7:8], v[12:13], v[18:19]
	v_mul_f64 v[7:8], v[16:17], v[7:8]
	v_fma_f64 v[20:21], v[9:10], v[12:13], v[7:8]
	v_mov_b32_e32 v8, s2
	v_add_co_u32_e32 v7, vcc, s1, v14
	v_addc_co_u32_e32 v8, vcc, v8, v15, vcc
	global_load_dwordx4 v[7:10], v[7:8], off
	v_add_co_u32_e32 v24, vcc, s12, v0
	v_addc_co_u32_e32 v25, vcc, v33, v1, vcc
	s_waitcnt vmcnt(0)
	v_mul_f64 v[14:15], v[16:17], -v[9:10]
	v_mul_f64 v[16:17], v[16:17], v[7:8]
	v_fma_f64 v[22:23], v[7:8], v[12:13], v[14:15]
	v_add_u32_e32 v7, s0, v11
	v_min_i32_e32 v7, s9, v7
	v_ashrrev_i32_e32 v8, 31, v7
	v_lshlrev_b64 v[26:27], 4, v[7:8]
	v_fma_f64 v[15:16], v[9:10], v[12:13], v[16:17]
	v_add_co_u32_e32 v28, vcc, s10, v26
	v_addc_co_u32_e32 v29, vcc, v2, v27, vcc
	global_load_dwordx4 v[7:10], v[24:25], off
	global_load_dwordx4 v[11:14], v[28:29], off
	v_mov_b32_e32 v17, s17
	s_waitcnt vmcnt(0)
	v_mul_f64 v[24:25], v[13:14], v[9:10]
	v_fma_f64 v[24:25], v[7:8], v[11:12], v[24:25]
	v_mul_f64 v[7:8], v[13:14], -v[7:8]
	v_fma_f64 v[7:8], v[9:10], v[11:12], v[7:8]
	v_mul_f64 v[9:10], v[13:14], v[13:14]
	v_fma_f64 v[9:10], v[11:12], v[11:12], v[9:10]
	v_div_scale_f64 v[11:12], s[6:7], v[9:10], v[9:10], 1.0
	v_rcp_f64_e32 v[13:14], v[11:12]
	v_fma_f64 v[28:29], -v[11:12], v[13:14], 1.0
	v_fma_f64 v[13:14], v[13:14], v[28:29], v[13:14]
	v_fma_f64 v[28:29], -v[11:12], v[13:14], 1.0
	v_fma_f64 v[13:14], v[13:14], v[28:29], v[13:14]
	v_div_scale_f64 v[28:29], vcc, 1.0, v[9:10], 1.0
	v_mul_f64 v[30:31], v[28:29], v[13:14]
	v_fma_f64 v[11:12], -v[11:12], v[30:31], v[28:29]
	s_nop 1
	v_div_fmas_f64 v[11:12], v[11:12], v[13:14], v[30:31]
	v_div_fixup_f64 v[9:10], v[11:12], v[9:10], 1.0
	v_mul_f64 v[28:29], v[9:10], v[7:8]
	v_add_co_u32_e32 v7, vcc, s12, v26
	v_addc_co_u32_e32 v8, vcc, v33, v27, vcc
	v_mul_f64 v[24:25], v[9:10], v[24:25]
	global_load_dwordx4 v[7:10], v[7:8], off
	s_waitcnt vmcnt(0)
	v_mul_f64 v[11:12], v[28:29], v[9:10]
	v_mul_f64 v[13:14], v[28:29], -v[7:8]
	v_fma_f64 v[7:8], -v[7:8], v[24:25], v[11:12]
	v_add_co_u32_e32 v11, vcc, s8, v26
	v_addc_co_u32_e32 v12, vcc, v32, v27, vcc
	v_fma_f64 v[9:10], -v[9:10], v[24:25], v[13:14]
	global_load_dwordx4 v[11:14], v[11:12], off
	s_waitcnt vmcnt(0)
	v_mul_f64 v[30:31], v[28:29], -v[13:14]
	v_fma_f64 v[30:31], v[11:12], v[24:25], v[30:31]
	v_mul_f64 v[11:12], v[28:29], v[11:12]
	v_fma_f64 v[32:33], v[13:14], v[24:25], v[11:12]
	v_mov_b32_e32 v12, s2
	v_add_co_u32_e32 v11, vcc, s1, v26
	v_addc_co_u32_e32 v12, vcc, v12, v27, vcc
	global_load_dwordx4 v[11:14], v[11:12], off
	s_waitcnt vmcnt(0)
	v_mul_f64 v[26:27], v[28:29], -v[13:14]
	v_mul_f64 v[28:29], v[28:29], v[11:12]
	v_fma_f64 v[11:12], v[11:12], v[24:25], v[26:27]
	v_fma_f64 v[13:14], v[13:14], v[24:25], v[28:29]
	v_add_co_u32_e32 v24, vcc, s16, v0
	v_addc_co_u32_e32 v25, vcc, v17, v1, vcc
	global_store_dwordx4 v[24:25], v[3:6], off
	s_nop 0
	v_add_co_u32_e32 v3, vcc, s10, v0
	v_addc_co_u32_e32 v4, vcc, v2, v1, vcc
	global_load_dwordx4 v[2:5], v[3:4], off
	v_mov_b32_e32 v6, s19
	s_waitcnt vmcnt(0)
	v_add_f64 v[17:18], v[2:3], -v[18:19]
	v_mov_b32_e32 v3, s2
	v_add_co_u32_e32 v2, vcc, s1, v0
	v_addc_co_u32_e32 v3, vcc, v3, v1, vcc
	v_add_f64 v[19:20], v[4:5], -v[20:21]
	global_load_dwordx4 v[2:5], v[2:3], off
	s_waitcnt vmcnt(0)
	v_add_f64 v[21:22], v[2:3], -v[22:23]
	v_add_f64 v[15:16], v[4:5], -v[15:16]
	;; [unrolled: 1-line block ×4, first 2 shown]
	v_mov_b32_e32 v18, s21
	v_add_co_u32_e64 v17, s[0:1], s20, v0
	v_add_f64 v[11:12], v[21:22], -v[11:12]
	v_add_f64 v[13:14], v[15:16], -v[13:14]
	v_add_co_u32_e32 v15, vcc, s18, v0
	v_addc_co_u32_e32 v16, vcc, v6, v1, vcc
	v_addc_co_u32_e64 v18, vcc, v18, v1, s[0:1]
	v_add_co_u32_e32 v0, vcc, s5, v0
	v_mov_b32_e32 v6, s4
	v_addc_co_u32_e32 v1, vcc, v6, v1, vcc
	global_store_dwordx4 v[17:18], v[7:10], off
	global_store_dwordx4 v[15:16], v[2:5], off
	;; [unrolled: 1-line block ×3, first 2 shown]
	s_endpgm
	.section	.rodata,"a",@progbits
	.p2align	6, 0x0
	.amdhsa_kernel _ZN9rocsparseL37gtsv_nopivot_pcr_pow2_stage1_n_kernelILj256E21rocsparse_complex_numIdEEEviiiiPKT0_S5_S5_S5_PS3_S6_S6_S6_
		.amdhsa_group_segment_fixed_size 0
		.amdhsa_private_segment_fixed_size 0
		.amdhsa_kernarg_size 80
		.amdhsa_user_sgpr_count 6
		.amdhsa_user_sgpr_private_segment_buffer 1
		.amdhsa_user_sgpr_dispatch_ptr 0
		.amdhsa_user_sgpr_queue_ptr 0
		.amdhsa_user_sgpr_kernarg_segment_ptr 1
		.amdhsa_user_sgpr_dispatch_id 0
		.amdhsa_user_sgpr_flat_scratch_init 0
		.amdhsa_user_sgpr_private_segment_size 0
		.amdhsa_uses_dynamic_stack 0
		.amdhsa_system_sgpr_private_segment_wavefront_offset 0
		.amdhsa_system_sgpr_workgroup_id_x 1
		.amdhsa_system_sgpr_workgroup_id_y 1
		.amdhsa_system_sgpr_workgroup_id_z 0
		.amdhsa_system_sgpr_workgroup_info 0
		.amdhsa_system_vgpr_workitem_id 0
		.amdhsa_next_free_vgpr 34
		.amdhsa_next_free_sgpr 26
		.amdhsa_reserve_vcc 1
		.amdhsa_reserve_flat_scratch 0
		.amdhsa_float_round_mode_32 0
		.amdhsa_float_round_mode_16_64 0
		.amdhsa_float_denorm_mode_32 3
		.amdhsa_float_denorm_mode_16_64 3
		.amdhsa_dx10_clamp 1
		.amdhsa_ieee_mode 1
		.amdhsa_fp16_overflow 0
		.amdhsa_exception_fp_ieee_invalid_op 0
		.amdhsa_exception_fp_denorm_src 0
		.amdhsa_exception_fp_ieee_div_zero 0
		.amdhsa_exception_fp_ieee_overflow 0
		.amdhsa_exception_fp_ieee_underflow 0
		.amdhsa_exception_fp_ieee_inexact 0
		.amdhsa_exception_int_div_zero 0
	.end_amdhsa_kernel
	.section	.text._ZN9rocsparseL37gtsv_nopivot_pcr_pow2_stage1_n_kernelILj256E21rocsparse_complex_numIdEEEviiiiPKT0_S5_S5_S5_PS3_S6_S6_S6_,"axG",@progbits,_ZN9rocsparseL37gtsv_nopivot_pcr_pow2_stage1_n_kernelILj256E21rocsparse_complex_numIdEEEviiiiPKT0_S5_S5_S5_PS3_S6_S6_S6_,comdat
.Lfunc_end92:
	.size	_ZN9rocsparseL37gtsv_nopivot_pcr_pow2_stage1_n_kernelILj256E21rocsparse_complex_numIdEEEviiiiPKT0_S5_S5_S5_PS3_S6_S6_S6_, .Lfunc_end92-_ZN9rocsparseL37gtsv_nopivot_pcr_pow2_stage1_n_kernelILj256E21rocsparse_complex_numIdEEEviiiiPKT0_S5_S5_S5_PS3_S6_S6_S6_
                                        ; -- End function
	.set _ZN9rocsparseL37gtsv_nopivot_pcr_pow2_stage1_n_kernelILj256E21rocsparse_complex_numIdEEEviiiiPKT0_S5_S5_S5_PS3_S6_S6_S6_.num_vgpr, 34
	.set _ZN9rocsparseL37gtsv_nopivot_pcr_pow2_stage1_n_kernelILj256E21rocsparse_complex_numIdEEEviiiiPKT0_S5_S5_S5_PS3_S6_S6_S6_.num_agpr, 0
	.set _ZN9rocsparseL37gtsv_nopivot_pcr_pow2_stage1_n_kernelILj256E21rocsparse_complex_numIdEEEviiiiPKT0_S5_S5_S5_PS3_S6_S6_S6_.numbered_sgpr, 26
	.set _ZN9rocsparseL37gtsv_nopivot_pcr_pow2_stage1_n_kernelILj256E21rocsparse_complex_numIdEEEviiiiPKT0_S5_S5_S5_PS3_S6_S6_S6_.num_named_barrier, 0
	.set _ZN9rocsparseL37gtsv_nopivot_pcr_pow2_stage1_n_kernelILj256E21rocsparse_complex_numIdEEEviiiiPKT0_S5_S5_S5_PS3_S6_S6_S6_.private_seg_size, 0
	.set _ZN9rocsparseL37gtsv_nopivot_pcr_pow2_stage1_n_kernelILj256E21rocsparse_complex_numIdEEEviiiiPKT0_S5_S5_S5_PS3_S6_S6_S6_.uses_vcc, 1
	.set _ZN9rocsparseL37gtsv_nopivot_pcr_pow2_stage1_n_kernelILj256E21rocsparse_complex_numIdEEEviiiiPKT0_S5_S5_S5_PS3_S6_S6_S6_.uses_flat_scratch, 0
	.set _ZN9rocsparseL37gtsv_nopivot_pcr_pow2_stage1_n_kernelILj256E21rocsparse_complex_numIdEEEviiiiPKT0_S5_S5_S5_PS3_S6_S6_S6_.has_dyn_sized_stack, 0
	.set _ZN9rocsparseL37gtsv_nopivot_pcr_pow2_stage1_n_kernelILj256E21rocsparse_complex_numIdEEEviiiiPKT0_S5_S5_S5_PS3_S6_S6_S6_.has_recursion, 0
	.set _ZN9rocsparseL37gtsv_nopivot_pcr_pow2_stage1_n_kernelILj256E21rocsparse_complex_numIdEEEviiiiPKT0_S5_S5_S5_PS3_S6_S6_S6_.has_indirect_call, 0
	.section	.AMDGPU.csdata,"",@progbits
; Kernel info:
; codeLenInByte = 1052
; TotalNumSgprs: 30
; NumVgprs: 34
; ScratchSize: 0
; MemoryBound: 0
; FloatMode: 240
; IeeeMode: 1
; LDSByteSize: 0 bytes/workgroup (compile time only)
; SGPRBlocks: 3
; VGPRBlocks: 8
; NumSGPRsForWavesPerEU: 30
; NumVGPRsForWavesPerEU: 34
; Occupancy: 7
; WaveLimiterHint : 0
; COMPUTE_PGM_RSRC2:SCRATCH_EN: 0
; COMPUTE_PGM_RSRC2:USER_SGPR: 6
; COMPUTE_PGM_RSRC2:TRAP_HANDLER: 0
; COMPUTE_PGM_RSRC2:TGID_X_EN: 1
; COMPUTE_PGM_RSRC2:TGID_Y_EN: 1
; COMPUTE_PGM_RSRC2:TGID_Z_EN: 0
; COMPUTE_PGM_RSRC2:TIDIG_COMP_CNT: 0
	.section	.text._ZN9rocsparseL34gtsv_nopivot_cr_pow2_stage2_kernelILj256E21rocsparse_complex_numIdEEEviiiPKT0_S5_S5_S5_PS3_,"axG",@progbits,_ZN9rocsparseL34gtsv_nopivot_cr_pow2_stage2_kernelILj256E21rocsparse_complex_numIdEEEviiiPKT0_S5_S5_S5_PS3_,comdat
	.globl	_ZN9rocsparseL34gtsv_nopivot_cr_pow2_stage2_kernelILj256E21rocsparse_complex_numIdEEEviiiPKT0_S5_S5_S5_PS3_ ; -- Begin function _ZN9rocsparseL34gtsv_nopivot_cr_pow2_stage2_kernelILj256E21rocsparse_complex_numIdEEEviiiPKT0_S5_S5_S5_PS3_
	.p2align	8
	.type	_ZN9rocsparseL34gtsv_nopivot_cr_pow2_stage2_kernelILj256E21rocsparse_complex_numIdEEEviiiPKT0_S5_S5_S5_PS3_,@function
_ZN9rocsparseL34gtsv_nopivot_cr_pow2_stage2_kernelILj256E21rocsparse_complex_numIdEEEviiiPKT0_S5_S5_S5_PS3_: ; @_ZN9rocsparseL34gtsv_nopivot_cr_pow2_stage2_kernelILj256E21rocsparse_complex_numIdEEEviiiPKT0_S5_S5_S5_PS3_
; %bb.0:
	s_load_dword s0, s[4:5], 0x38
	s_load_dwordx8 s[8:15], s[4:5], 0x10
	v_mov_b32_e32 v6, 0
	s_load_dword s1, s[4:5], 0x0
	s_load_dwordx2 s[2:3], s[4:5], 0x30
	s_waitcnt lgkmcnt(0)
	v_mul_lo_u32 v1, s0, v0
	v_mov_b32_e32 v9, s9
	v_mov_b32_e32 v30, s11
	;; [unrolled: 1-line block ×3, first 2 shown]
	v_add_u32_e32 v5, s6, v1
	v_lshlrev_b64 v[1:2], 4, v[5:6]
	s_mul_i32 s1, s1, s7
	v_add_co_u32_e32 v3, vcc, s8, v1
	v_addc_co_u32_e32 v4, vcc, v9, v2, vcc
	global_load_dwordx4 v[10:13], v[3:4], off
	v_add_co_u32_e32 v3, vcc, s10, v1
	v_addc_co_u32_e32 v4, vcc, v30, v2, vcc
	v_add_co_u32_e32 v1, vcc, s12, v1
	v_addc_co_u32_e32 v2, vcc, v34, v2, vcc
	global_load_dwordx4 v[18:21], v[1:2], off
	v_add_u32_e32 v1, s1, v5
	v_mov_b32_e32 v2, v6
	v_lshlrev_b64 v[1:2], 4, v[1:2]
	v_mov_b32_e32 v38, s15
	v_add_co_u32_e32 v1, vcc, s14, v1
	v_addc_co_u32_e32 v2, vcc, v38, v2, vcc
	v_lshl_add_u32 v7, s0, 8, v5
	v_mov_b32_e32 v8, v6
	global_load_dwordx4 v[22:25], v[1:2], off
	v_lshlrev_b64 v[1:2], 4, v[7:8]
	global_load_dwordx4 v[14:17], v[3:4], off
	v_add_co_u32_e32 v3, vcc, s8, v1
	v_addc_co_u32_e32 v4, vcc, v9, v2, vcc
	global_load_dwordx4 v[26:29], v[3:4], off
	v_add_co_u32_e32 v3, vcc, s10, v1
	v_addc_co_u32_e32 v4, vcc, v30, v2, vcc
	v_add_co_u32_e32 v1, vcc, s12, v1
	v_addc_co_u32_e32 v2, vcc, v34, v2, vcc
	global_load_dwordx4 v[34:37], v[1:2], off
	v_add_u32_e32 v1, s1, v7
	v_mov_b32_e32 v2, v6
	v_lshlrev_b64 v[1:2], 4, v[1:2]
	global_load_dwordx4 v[30:33], v[3:4], off
	v_add_co_u32_e32 v1, vcc, s14, v1
	v_addc_co_u32_e32 v2, vcc, v38, v2, vcc
	global_load_dwordx4 v[38:41], v[1:2], off
	s_mov_b32 s12, 0
	s_mov_b32 s15, s12
	v_lshlrev_b32_e32 v9, 4, v0
	s_mov_b32 s13, s12
	s_mov_b32 s14, s12
	v_mov_b32_e32 v45, s15
	s_mov_b32 s6, 8
	s_mov_b32 s10, 1
	v_add_u32_e32 v1, 1, v0
	v_or_b32_e32 v8, 0x6000, v9
	v_mov_b32_e32 v44, s14
	v_mov_b32_e32 v43, s13
	;; [unrolled: 1-line block ×3, first 2 shown]
	v_or_b32_e32 v6, 0x7000, v9
	s_movk_i32 s11, 0x100
	v_or_b32_e32 v2, 0x2000, v9
	v_or_b32_e32 v3, 0x4000, v9
	;; [unrolled: 1-line block ×7, first 2 shown]
	ds_write_b128 v9, v[42:45] offset:24576
	ds_write_b128 v9, v[42:45] offset:28672
	s_waitcnt vmcnt(7)
	ds_write2_b64 v9, v[10:11], v[12:13] offset1:1
	s_waitcnt vmcnt(4)
	ds_write2_b64 v2, v[14:15], v[16:17] offset1:1
	ds_write2_b64 v3, v[18:19], v[20:21] offset1:1
	;; [unrolled: 1-line block ×3, first 2 shown]
	s_waitcnt vmcnt(3)
	ds_write2_b64 v46, v[26:27], v[28:29] offset1:1
	s_waitcnt vmcnt(1)
	ds_write2_b64 v47, v[30:31], v[32:33] offset1:1
	ds_write2_b64 v48, v[34:35], v[36:37] offset1:1
	s_waitcnt vmcnt(0)
	ds_write2_b64 v49, v[38:39], v[40:41] offset1:1
	s_waitcnt lgkmcnt(0)
	s_barrier
	s_branch .LBB93_2
.LBB93_1:                               ;   in Loop: Header=BB93_2 Depth=1
	s_or_b64 exec, exec, s[8:9]
	s_lshr_b32 s11, s11, 1
	s_add_i32 s6, s6, -1
	s_cmp_eq_u32 s6, 0
	s_waitcnt lgkmcnt(0)
	s_barrier
	s_cbranch_scc1 .LBB93_4
.LBB93_2:                               ; =>This Inner Loop Header: Depth=1
	s_lshl_b32 s10, s10, 1
	v_cmp_gt_u32_e32 vcc, s11, v0
	s_and_saveexec_b64 s[8:9], vcc
	s_cbranch_execz .LBB93_1
; %bb.3:                                ;   in Loop: Header=BB93_2 Depth=1
	v_mad_u64_u32 v[2:3], s[0:1], s10, v1, -1
	s_ashr_i32 s0, s10, 1
	v_subrev_u32_e32 v3, s0, v2
	v_lshlrev_b32_e32 v52, 4, v3
	ds_read_b128 v[10:13], v52 offset:8192
	ds_read_b128 v[14:17], v52 offset:16384
	v_add_u32_e32 v3, s0, v2
	v_min_u32_e32 v3, 0x1ff, v3
	v_lshlrev_b32_e32 v53, 4, v3
	s_waitcnt lgkmcnt(1)
	v_mul_f64 v[3:4], v[12:13], v[12:13]
	ds_read_b128 v[18:21], v53 offset:8192
	ds_read_b128 v[22:25], v53 offset:16384
	v_lshlrev_b32_e32 v68, 4, v2
	s_waitcnt lgkmcnt(1)
	v_mul_f64 v[26:27], v[20:21], v[20:21]
	v_fma_f64 v[3:4], v[10:11], v[10:11], v[3:4]
	v_fma_f64 v[42:43], v[18:19], v[18:19], v[26:27]
	v_div_scale_f64 v[26:27], s[0:1], v[3:4], v[3:4], 1.0
	v_div_scale_f64 v[28:29], s[0:1], v[42:43], v[42:43], 1.0
	v_div_scale_f64 v[38:39], s[0:1], 1.0, v[42:43], 1.0
	v_rcp_f64_e32 v[30:31], v[26:27]
	v_rcp_f64_e32 v[32:33], v[28:29]
	v_fma_f64 v[34:35], -v[26:27], v[30:31], 1.0
	v_fma_f64 v[36:37], -v[28:29], v[32:33], 1.0
	v_fma_f64 v[30:31], v[30:31], v[34:35], v[30:31]
	v_div_scale_f64 v[34:35], vcc, 1.0, v[3:4], 1.0
	v_fma_f64 v[32:33], v[32:33], v[36:37], v[32:33]
	v_fma_f64 v[36:37], -v[26:27], v[30:31], 1.0
	v_fma_f64 v[40:41], -v[28:29], v[32:33], 1.0
	v_fma_f64 v[30:31], v[30:31], v[36:37], v[30:31]
	v_fma_f64 v[36:37], v[32:33], v[40:41], v[32:33]
	v_mul_f64 v[32:33], v[34:35], v[30:31]
	v_mul_f64 v[40:41], v[38:39], v[36:37]
	v_fma_f64 v[26:27], -v[26:27], v[32:33], v[34:35]
	v_fma_f64 v[34:35], -v[28:29], v[40:41], v[38:39]
	v_div_fmas_f64 v[44:45], v[26:27], v[30:31], v[32:33]
	ds_read_b128 v[26:29], v68
	ds_read_b128 v[30:33], v68 offset:32768
	s_mov_b64 vcc, s[0:1]
	v_div_fmas_f64 v[46:47], v[34:35], v[36:37], v[40:41]
	s_waitcnt lgkmcnt(1)
	v_mul_f64 v[48:49], v[12:13], -v[26:27]
	ds_read_b128 v[34:37], v68 offset:16384
	ds_read_b128 v[38:41], v68 offset:8192
	v_mul_f64 v[12:13], v[12:13], v[28:29]
	s_waitcnt lgkmcnt(1)
	v_mul_f64 v[50:51], v[20:21], -v[34:35]
	v_mul_f64 v[20:21], v[20:21], v[36:37]
	v_fma_f64 v[28:29], v[28:29], v[10:11], v[48:49]
	v_div_fixup_f64 v[2:3], v[44:45], v[3:4], 1.0
	v_fma_f64 v[44:45], v[26:27], v[10:11], v[12:13]
	v_fma_f64 v[48:49], v[36:37], v[18:19], v[50:51]
	v_div_fixup_f64 v[42:43], v[46:47], v[42:43], 1.0
	v_fma_f64 v[46:47], v[34:35], v[18:19], v[20:21]
	v_mul_f64 v[50:51], v[2:3], v[28:29]
	ds_read_b128 v[10:13], v52 offset:32768
	ds_read_b128 v[18:21], v52
	ds_read_b128 v[26:29], v53
	ds_read_b128 v[34:37], v53 offset:32768
	v_mul_f64 v[2:3], v[2:3], v[44:45]
	v_mul_f64 v[44:45], v[42:43], v[48:49]
	;; [unrolled: 1-line block ×3, first 2 shown]
	v_mul_f64 v[46:47], v[50:51], -v[16:17]
	v_mul_f64 v[48:49], v[50:51], v[14:15]
	s_waitcnt lgkmcnt(3)
	v_mul_f64 v[52:53], v[50:51], -v[12:13]
	v_mul_f64 v[54:55], v[50:51], v[10:11]
	s_waitcnt lgkmcnt(2)
	v_mul_f64 v[56:57], v[50:51], v[20:21]
	s_waitcnt lgkmcnt(1)
	v_mul_f64 v[58:59], v[44:45], -v[28:29]
	v_mul_f64 v[60:61], v[44:45], v[26:27]
	s_waitcnt lgkmcnt(0)
	v_mul_f64 v[62:63], v[44:45], -v[36:37]
	v_fma_f64 v[14:15], v[14:15], v[2:3], v[46:47]
	v_fma_f64 v[16:17], v[16:17], v[2:3], v[48:49]
	v_mul_f64 v[64:65], v[44:45], v[34:35]
	v_fma_f64 v[10:11], v[10:11], v[2:3], v[52:53]
	v_fma_f64 v[12:13], v[12:13], v[2:3], v[54:55]
	v_mul_f64 v[50:51], v[50:51], -v[18:19]
	v_fma_f64 v[26:27], v[26:27], v[42:43], v[58:59]
	v_fma_f64 v[28:29], v[28:29], v[42:43], v[60:61]
	v_add_f64 v[38:39], v[38:39], -v[14:15]
	v_add_f64 v[16:17], v[40:41], -v[16:17]
	v_fma_f64 v[34:35], v[34:35], v[42:43], v[62:63]
	v_fma_f64 v[36:37], v[36:37], v[42:43], v[64:65]
	v_add_f64 v[30:31], v[30:31], -v[10:11]
	v_add_f64 v[32:33], v[32:33], -v[12:13]
	v_mul_f64 v[66:67], v[44:45], v[24:25]
	v_mul_f64 v[40:41], v[44:45], -v[22:23]
	v_fma_f64 v[10:11], -v[18:19], v[2:3], v[56:57]
	v_fma_f64 v[12:13], -v[20:21], v[2:3], v[50:51]
	v_add_f64 v[18:19], v[38:39], -v[26:27]
	v_add_f64 v[20:21], v[16:17], -v[28:29]
	;; [unrolled: 1-line block ×4, first 2 shown]
	v_fma_f64 v[14:15], -v[22:23], v[42:43], v[66:67]
	v_fma_f64 v[16:17], -v[24:25], v[42:43], v[40:41]
	ds_write_b128 v68, v[10:13]
	ds_write_b128 v68, v[18:21] offset:8192
	ds_write_b128 v68, v[26:29] offset:32768
	;; [unrolled: 1-line block ×3, first 2 shown]
	s_branch .LBB93_1
.LBB93_4:
	v_cmp_ne_u32_e64 s[0:1], 0, v0
	v_cmp_eq_u32_e32 vcc, 0, v0
	s_and_saveexec_b64 s[8:9], vcc
	s_cbranch_execz .LBB93_6
; %bb.5:
	v_mov_b32_e32 v50, 0
	ds_read_b128 v[1:4], v50 offset:12272
	ds_read_b128 v[10:13], v50 offset:8176
	;; [unrolled: 1-line block ×4, first 2 shown]
	s_waitcnt lgkmcnt(1)
	v_mul_f64 v[22:23], v[3:4], v[14:15]
	s_waitcnt lgkmcnt(0)
	v_mul_f64 v[24:25], v[12:13], v[18:19]
	v_mul_f64 v[26:27], v[3:4], -v[16:17]
	v_mul_f64 v[28:29], v[12:13], -v[20:21]
	v_fma_f64 v[22:23], v[16:17], v[1:2], v[22:23]
	v_fma_f64 v[24:25], v[20:21], v[10:11], v[24:25]
	;; [unrolled: 1-line block ×4, first 2 shown]
	v_add_f64 v[30:31], v[22:23], -v[24:25]
	v_add_f64 v[32:33], v[26:27], -v[28:29]
	v_mul_f64 v[22:23], v[30:31], v[30:31]
	v_fma_f64 v[34:35], v[32:33], v[32:33], v[22:23]
	v_div_scale_f64 v[22:23], s[10:11], v[34:35], v[34:35], 1.0
	v_rcp_f64_e32 v[24:25], v[22:23]
	v_fma_f64 v[26:27], -v[22:23], v[24:25], 1.0
	v_fma_f64 v[24:25], v[24:25], v[26:27], v[24:25]
	v_div_scale_f64 v[26:27], vcc, 1.0, v[34:35], 1.0
	v_fma_f64 v[28:29], -v[22:23], v[24:25], 1.0
	v_fma_f64 v[36:37], v[24:25], v[28:29], v[24:25]
	v_mul_f64 v[38:39], v[26:27], v[36:37]
	v_fma_f64 v[40:41], -v[22:23], v[38:39], v[26:27]
	ds_read_b128 v[22:25], v50 offset:36848
	ds_read_b128 v[26:29], v50 offset:40944
	s_waitcnt lgkmcnt(1)
	v_mul_f64 v[48:49], v[12:13], -v[24:25]
	s_waitcnt lgkmcnt(0)
	v_mul_f64 v[42:43], v[28:29], -v[20:21]
	v_mul_f64 v[44:45], v[18:19], v[28:29]
	v_div_fmas_f64 v[36:37], v[40:41], v[36:37], v[38:39]
	v_mul_f64 v[38:39], v[24:25], -v[16:17]
	v_mul_f64 v[40:41], v[14:15], v[24:25]
	v_mul_f64 v[46:47], v[3:4], -v[28:29]
	v_mul_f64 v[3:4], v[3:4], v[26:27]
	v_mul_f64 v[12:13], v[12:13], v[22:23]
	v_fma_f64 v[18:19], v[18:19], v[26:27], v[42:43]
	v_fma_f64 v[20:21], v[20:21], v[26:27], v[44:45]
	;; [unrolled: 1-line block ×4, first 2 shown]
	v_fma_f64 v[38:39], v[32:33], 0, -v[30:31]
	v_fma_f64 v[26:27], v[26:27], v[1:2], v[46:47]
	v_fma_f64 v[1:2], v[28:29], v[1:2], v[3:4]
	;; [unrolled: 1-line block ×4, first 2 shown]
	v_div_fixup_f64 v[34:35], v[36:37], v[34:35], 1.0
	v_add_f64 v[14:15], v[14:15], -v[18:19]
	v_add_f64 v[12:13], v[16:17], -v[20:21]
	v_fma_f64 v[16:17], v[30:31], 0, v[32:33]
	v_add_f64 v[18:19], v[1:2], -v[3:4]
	v_add_f64 v[10:11], v[26:27], -v[10:11]
	v_mul_f64 v[20:21], v[38:39], v[34:35]
	v_mul_f64 v[16:17], v[16:17], v[34:35]
	v_mul_f64 v[1:2], v[20:21], -v[12:13]
	v_mul_f64 v[3:4], v[20:21], v[14:15]
	v_mul_f64 v[22:23], v[20:21], -v[18:19]
	v_mul_f64 v[20:21], v[20:21], v[10:11]
	v_fma_f64 v[1:2], v[14:15], v[16:17], v[1:2]
	v_fma_f64 v[3:4], v[12:13], v[16:17], v[3:4]
	;; [unrolled: 1-line block ×4, first 2 shown]
	ds_write_b128 v50, v[1:4] offset:28656
	ds_write_b128 v50, v[10:13] offset:32752
.LBB93_6:
	s_or_b64 exec, exec, s[8:9]
	v_cmp_gt_u32_e32 vcc, 2, v0
	v_lshlrev_b32_e32 v10, 8, v0
	s_waitcnt lgkmcnt(0)
	s_barrier
	s_and_saveexec_b64 s[8:9], vcc
	s_cbranch_execz .LBB93_11
; %bb.7:
	v_lshlrev_b32_e32 v1, 12, v0
	ds_read_b128 v[1:4], v1 offset:34800
	v_lshlrev_b32_e32 v11, 4, v10
	s_and_saveexec_b64 s[10:11], s[0:1]
	s_xor_b64 s[10:11], exec, s[10:11]
	s_cbranch_execz .LBB93_9
; %bb.8:
	ds_read_b128 v[12:15], v11 offset:10224
	s_waitcnt lgkmcnt(0)
	v_mul_f64 v[16:17], v[14:15], v[14:15]
	v_fma_f64 v[32:33], v[12:13], v[12:13], v[16:17]
	v_div_scale_f64 v[34:35], s[12:13], v[32:33], v[32:33], 1.0
	v_div_scale_f64 v[38:39], vcc, 1.0, v[32:33], 1.0
	v_rcp_f64_e32 v[16:17], v[34:35]
	v_fma_f64 v[18:19], -v[34:35], v[16:17], 1.0
	v_fma_f64 v[36:37], v[16:17], v[18:19], v[16:17]
	ds_read_b128 v[16:19], v11 offset:2032
	ds_read_b128 v[20:23], v11 offset:24560
	;; [unrolled: 1-line block ×4, first 2 shown]
	s_waitcnt lgkmcnt(2)
	v_mul_f64 v[42:43], v[22:23], v[16:17]
	v_mul_f64 v[22:23], v[22:23], -v[18:19]
	v_fma_f64 v[40:41], -v[34:35], v[36:37], 1.0
	v_fma_f64 v[18:19], v[18:19], v[20:21], v[42:43]
	v_fma_f64 v[16:17], v[16:17], v[20:21], v[22:23]
	;; [unrolled: 1-line block ×3, first 2 shown]
	s_waitcnt lgkmcnt(0)
	v_mul_f64 v[40:41], v[30:31], v[24:25]
	v_mul_f64 v[30:31], v[30:31], -v[26:27]
	v_add_f64 v[3:4], v[3:4], -v[18:19]
	v_add_f64 v[1:2], v[1:2], -v[16:17]
	v_mul_f64 v[42:43], v[38:39], v[36:37]
	v_fma_f64 v[20:21], v[26:27], v[28:29], v[40:41]
	v_fma_f64 v[18:19], v[24:25], v[28:29], v[30:31]
	v_fma_f64 v[22:23], -v[34:35], v[42:43], v[38:39]
	v_add_f64 v[3:4], v[3:4], -v[20:21]
	v_add_f64 v[1:2], v[1:2], -v[18:19]
	v_div_fmas_f64 v[16:17], v[22:23], v[36:37], v[42:43]
	v_mul_f64 v[18:19], v[14:15], v[3:4]
	v_mul_f64 v[14:15], v[14:15], -v[1:2]
	v_fma_f64 v[1:2], v[1:2], v[12:13], v[18:19]
	v_fma_f64 v[3:4], v[3:4], v[12:13], v[14:15]
	v_div_fixup_f64 v[16:17], v[16:17], v[32:33], 1.0
	v_mul_f64 v[1:2], v[1:2], v[16:17]
	v_mul_f64 v[3:4], v[16:17], v[3:4]
	ds_write_b128 v11, v[1:4] offset:26608
                                        ; implicit-def: $vgpr11
                                        ; implicit-def: $vgpr1_vgpr2
.LBB93_9:
	s_andn2_saveexec_b64 s[10:11], s[10:11]
	s_cbranch_execz .LBB93_11
; %bb.10:
	ds_read_b128 v[12:15], v11 offset:10224
	s_waitcnt lgkmcnt(0)
	v_mul_f64 v[16:17], v[14:15], v[14:15]
	v_fma_f64 v[24:25], v[12:13], v[12:13], v[16:17]
	v_div_scale_f64 v[26:27], s[10:11], v[24:25], v[24:25], 1.0
	v_div_scale_f64 v[28:29], vcc, 1.0, v[24:25], 1.0
	v_rcp_f64_e32 v[16:17], v[26:27]
	v_fma_f64 v[18:19], -v[26:27], v[16:17], 1.0
	v_fma_f64 v[20:21], v[16:17], v[18:19], v[16:17]
	ds_read_b128 v[16:19], v11 offset:18416
	v_fma_f64 v[22:23], -v[26:27], v[20:21], 1.0
	v_fma_f64 v[30:31], v[20:21], v[22:23], v[20:21]
	ds_read_b128 v[20:23], v11 offset:28656
	s_waitcnt lgkmcnt(0)
	v_mul_f64 v[32:33], v[22:23], v[16:17]
	v_mul_f64 v[22:23], v[22:23], -v[18:19]
	v_mul_f64 v[34:35], v[28:29], v[30:31]
	v_fma_f64 v[18:19], v[18:19], v[20:21], v[32:33]
	v_fma_f64 v[16:17], v[16:17], v[20:21], v[22:23]
	v_fma_f64 v[26:27], -v[26:27], v[34:35], v[28:29]
	v_add_f64 v[3:4], v[3:4], -v[18:19]
	v_add_f64 v[1:2], v[1:2], -v[16:17]
	v_div_fmas_f64 v[18:19], v[26:27], v[30:31], v[34:35]
	v_mul_f64 v[16:17], v[3:4], v[14:15]
	v_mul_f64 v[14:15], v[14:15], -v[1:2]
	v_fma_f64 v[1:2], v[1:2], v[12:13], v[16:17]
	v_fma_f64 v[3:4], v[3:4], v[12:13], v[14:15]
	v_div_fixup_f64 v[16:17], v[18:19], v[24:25], 1.0
	v_mul_f64 v[1:2], v[1:2], v[16:17]
	v_mul_f64 v[3:4], v[3:4], v[16:17]
	ds_write_b128 v11, v[1:4] offset:26608
.LBB93_11:
	s_or_b64 exec, exec, s[8:9]
	v_cmp_gt_u32_e32 vcc, 4, v0
	v_lshlrev_b32_e32 v13, 7, v0
	s_waitcnt lgkmcnt(0)
	s_barrier
	s_and_saveexec_b64 s[8:9], vcc
	s_cbranch_execz .LBB93_16
; %bb.12:
	v_lshlrev_b32_e32 v1, 11, v0
	ds_read_b128 v[1:4], v1 offset:33776
	v_lshlrev_b32_e32 v11, 4, v13
	s_and_saveexec_b64 s[10:11], s[0:1]
	s_xor_b64 s[10:11], exec, s[10:11]
	s_cbranch_execz .LBB93_14
; %bb.13:
	ds_read_b128 v[14:17], v11 offset:9200
	s_waitcnt lgkmcnt(0)
	v_mul_f64 v[18:19], v[16:17], v[16:17]
	v_fma_f64 v[34:35], v[14:15], v[14:15], v[18:19]
	v_div_scale_f64 v[36:37], s[12:13], v[34:35], v[34:35], 1.0
	v_div_scale_f64 v[40:41], vcc, 1.0, v[34:35], 1.0
	v_rcp_f64_e32 v[18:19], v[36:37]
	v_fma_f64 v[20:21], -v[36:37], v[18:19], 1.0
	v_fma_f64 v[38:39], v[18:19], v[20:21], v[18:19]
	ds_read_b128 v[18:21], v11 offset:1008
	ds_read_b128 v[22:25], v11 offset:24560
	;; [unrolled: 1-line block ×4, first 2 shown]
	s_waitcnt lgkmcnt(2)
	v_mul_f64 v[44:45], v[24:25], v[18:19]
	v_mul_f64 v[24:25], v[24:25], -v[20:21]
	v_fma_f64 v[42:43], -v[36:37], v[38:39], 1.0
	v_fma_f64 v[20:21], v[20:21], v[22:23], v[44:45]
	v_fma_f64 v[18:19], v[18:19], v[22:23], v[24:25]
	v_fma_f64 v[38:39], v[38:39], v[42:43], v[38:39]
	s_waitcnt lgkmcnt(0)
	v_mul_f64 v[42:43], v[32:33], v[26:27]
	v_mul_f64 v[32:33], v[32:33], -v[28:29]
	v_add_f64 v[3:4], v[3:4], -v[20:21]
	v_add_f64 v[1:2], v[1:2], -v[18:19]
	v_mul_f64 v[44:45], v[40:41], v[38:39]
	v_fma_f64 v[22:23], v[28:29], v[30:31], v[42:43]
	v_fma_f64 v[20:21], v[26:27], v[30:31], v[32:33]
	v_fma_f64 v[24:25], -v[36:37], v[44:45], v[40:41]
	v_add_f64 v[3:4], v[3:4], -v[22:23]
	v_add_f64 v[1:2], v[1:2], -v[20:21]
	v_div_fmas_f64 v[18:19], v[24:25], v[38:39], v[44:45]
	v_mul_f64 v[20:21], v[16:17], v[3:4]
	v_mul_f64 v[16:17], v[16:17], -v[1:2]
	v_fma_f64 v[1:2], v[1:2], v[14:15], v[20:21]
	v_fma_f64 v[3:4], v[3:4], v[14:15], v[16:17]
	v_div_fixup_f64 v[18:19], v[18:19], v[34:35], 1.0
	v_mul_f64 v[1:2], v[1:2], v[18:19]
	v_mul_f64 v[3:4], v[18:19], v[3:4]
	ds_write_b128 v11, v[1:4] offset:25584
                                        ; implicit-def: $vgpr11
                                        ; implicit-def: $vgpr1_vgpr2
.LBB93_14:
	s_andn2_saveexec_b64 s[10:11], s[10:11]
	s_cbranch_execz .LBB93_16
; %bb.15:
	ds_read_b128 v[14:17], v11 offset:9200
	s_waitcnt lgkmcnt(0)
	v_mul_f64 v[18:19], v[16:17], v[16:17]
	v_fma_f64 v[26:27], v[14:15], v[14:15], v[18:19]
	v_div_scale_f64 v[28:29], s[10:11], v[26:27], v[26:27], 1.0
	v_div_scale_f64 v[30:31], vcc, 1.0, v[26:27], 1.0
	v_rcp_f64_e32 v[18:19], v[28:29]
	v_fma_f64 v[20:21], -v[28:29], v[18:19], 1.0
	v_fma_f64 v[22:23], v[18:19], v[20:21], v[18:19]
	ds_read_b128 v[18:21], v11 offset:17392
	v_fma_f64 v[24:25], -v[28:29], v[22:23], 1.0
	v_fma_f64 v[32:33], v[22:23], v[24:25], v[22:23]
	ds_read_b128 v[22:25], v11 offset:26608
	s_waitcnt lgkmcnt(0)
	v_mul_f64 v[34:35], v[24:25], v[18:19]
	v_mul_f64 v[24:25], v[24:25], -v[20:21]
	v_mul_f64 v[36:37], v[30:31], v[32:33]
	v_fma_f64 v[20:21], v[20:21], v[22:23], v[34:35]
	v_fma_f64 v[18:19], v[18:19], v[22:23], v[24:25]
	v_fma_f64 v[28:29], -v[28:29], v[36:37], v[30:31]
	v_add_f64 v[3:4], v[3:4], -v[20:21]
	v_add_f64 v[1:2], v[1:2], -v[18:19]
	v_div_fmas_f64 v[20:21], v[28:29], v[32:33], v[36:37]
	v_mul_f64 v[18:19], v[3:4], v[16:17]
	v_mul_f64 v[16:17], v[16:17], -v[1:2]
	v_fma_f64 v[1:2], v[1:2], v[14:15], v[18:19]
	v_fma_f64 v[3:4], v[3:4], v[14:15], v[16:17]
	v_div_fixup_f64 v[18:19], v[20:21], v[26:27], 1.0
	v_mul_f64 v[1:2], v[1:2], v[18:19]
	v_mul_f64 v[3:4], v[3:4], v[18:19]
	ds_write_b128 v11, v[1:4] offset:25584
.LBB93_16:
	s_or_b64 exec, exec, s[8:9]
	v_cmp_gt_u32_e32 vcc, 8, v0
	v_lshlrev_b32_e32 v12, 6, v0
	s_waitcnt lgkmcnt(0)
	s_barrier
	s_and_saveexec_b64 s[8:9], vcc
	s_cbranch_execz .LBB93_21
; %bb.17:
	v_lshlrev_b32_e32 v1, 10, v0
	ds_read_b128 v[1:4], v1 offset:33264
	v_lshlrev_b32_e32 v11, 4, v12
	s_and_saveexec_b64 s[10:11], s[0:1]
	s_xor_b64 s[10:11], exec, s[10:11]
	s_cbranch_execz .LBB93_19
; %bb.18:
	ds_read_b128 v[14:17], v11 offset:8688
	s_waitcnt lgkmcnt(0)
	v_mul_f64 v[18:19], v[16:17], v[16:17]
	v_fma_f64 v[34:35], v[14:15], v[14:15], v[18:19]
	v_div_scale_f64 v[36:37], s[12:13], v[34:35], v[34:35], 1.0
	v_div_scale_f64 v[40:41], vcc, 1.0, v[34:35], 1.0
	v_rcp_f64_e32 v[18:19], v[36:37]
	v_fma_f64 v[20:21], -v[36:37], v[18:19], 1.0
	v_fma_f64 v[38:39], v[18:19], v[20:21], v[18:19]
	ds_read_b128 v[18:21], v11 offset:496
	ds_read_b128 v[22:25], v11 offset:24560
	;; [unrolled: 1-line block ×4, first 2 shown]
	s_waitcnt lgkmcnt(2)
	v_mul_f64 v[44:45], v[24:25], v[18:19]
	v_mul_f64 v[24:25], v[24:25], -v[20:21]
	v_fma_f64 v[42:43], -v[36:37], v[38:39], 1.0
	v_fma_f64 v[20:21], v[20:21], v[22:23], v[44:45]
	v_fma_f64 v[18:19], v[18:19], v[22:23], v[24:25]
	;; [unrolled: 1-line block ×3, first 2 shown]
	s_waitcnt lgkmcnt(0)
	v_mul_f64 v[42:43], v[32:33], v[26:27]
	v_mul_f64 v[32:33], v[32:33], -v[28:29]
	v_add_f64 v[3:4], v[3:4], -v[20:21]
	v_add_f64 v[1:2], v[1:2], -v[18:19]
	v_mul_f64 v[44:45], v[40:41], v[38:39]
	v_fma_f64 v[22:23], v[28:29], v[30:31], v[42:43]
	v_fma_f64 v[20:21], v[26:27], v[30:31], v[32:33]
	v_fma_f64 v[24:25], -v[36:37], v[44:45], v[40:41]
	v_add_f64 v[3:4], v[3:4], -v[22:23]
	v_add_f64 v[1:2], v[1:2], -v[20:21]
	v_div_fmas_f64 v[18:19], v[24:25], v[38:39], v[44:45]
	v_mul_f64 v[20:21], v[16:17], v[3:4]
	v_mul_f64 v[16:17], v[16:17], -v[1:2]
	v_fma_f64 v[1:2], v[1:2], v[14:15], v[20:21]
	v_fma_f64 v[3:4], v[3:4], v[14:15], v[16:17]
	v_div_fixup_f64 v[18:19], v[18:19], v[34:35], 1.0
	v_mul_f64 v[1:2], v[1:2], v[18:19]
	v_mul_f64 v[3:4], v[18:19], v[3:4]
	ds_write_b128 v11, v[1:4] offset:25072
                                        ; implicit-def: $vgpr11
                                        ; implicit-def: $vgpr1_vgpr2
.LBB93_19:
	s_andn2_saveexec_b64 s[10:11], s[10:11]
	s_cbranch_execz .LBB93_21
; %bb.20:
	ds_read_b128 v[14:17], v11 offset:8688
	s_waitcnt lgkmcnt(0)
	v_mul_f64 v[18:19], v[16:17], v[16:17]
	v_fma_f64 v[26:27], v[14:15], v[14:15], v[18:19]
	v_div_scale_f64 v[28:29], s[10:11], v[26:27], v[26:27], 1.0
	v_div_scale_f64 v[30:31], vcc, 1.0, v[26:27], 1.0
	v_rcp_f64_e32 v[18:19], v[28:29]
	v_fma_f64 v[20:21], -v[28:29], v[18:19], 1.0
	v_fma_f64 v[22:23], v[18:19], v[20:21], v[18:19]
	ds_read_b128 v[18:21], v11 offset:16880
	v_fma_f64 v[24:25], -v[28:29], v[22:23], 1.0
	v_fma_f64 v[32:33], v[22:23], v[24:25], v[22:23]
	ds_read_b128 v[22:25], v11 offset:25584
	s_waitcnt lgkmcnt(0)
	v_mul_f64 v[34:35], v[24:25], v[18:19]
	v_mul_f64 v[24:25], v[24:25], -v[20:21]
	v_mul_f64 v[36:37], v[30:31], v[32:33]
	v_fma_f64 v[20:21], v[20:21], v[22:23], v[34:35]
	v_fma_f64 v[18:19], v[18:19], v[22:23], v[24:25]
	v_fma_f64 v[28:29], -v[28:29], v[36:37], v[30:31]
	v_add_f64 v[3:4], v[3:4], -v[20:21]
	v_add_f64 v[1:2], v[1:2], -v[18:19]
	v_div_fmas_f64 v[20:21], v[28:29], v[32:33], v[36:37]
	v_mul_f64 v[18:19], v[3:4], v[16:17]
	v_mul_f64 v[16:17], v[16:17], -v[1:2]
	v_fma_f64 v[1:2], v[1:2], v[14:15], v[18:19]
	v_fma_f64 v[3:4], v[3:4], v[14:15], v[16:17]
	v_div_fixup_f64 v[18:19], v[20:21], v[26:27], 1.0
	v_mul_f64 v[1:2], v[1:2], v[18:19]
	v_mul_f64 v[3:4], v[3:4], v[18:19]
	ds_write_b128 v11, v[1:4] offset:25072
.LBB93_21:
	s_or_b64 exec, exec, s[8:9]
	v_cmp_gt_u32_e32 vcc, 16, v0
	v_lshlrev_b32_e32 v11, 5, v0
	s_waitcnt lgkmcnt(0)
	s_barrier
	s_and_saveexec_b64 s[8:9], vcc
	s_cbranch_execz .LBB93_26
; %bb.22:
	v_lshlrev_b32_e32 v1, 9, v0
	ds_read_b128 v[1:4], v1 offset:33008
	v_lshlrev_b32_e32 v14, 4, v11
	s_and_saveexec_b64 s[10:11], s[0:1]
	s_xor_b64 s[10:11], exec, s[10:11]
	s_cbranch_execz .LBB93_24
; %bb.23:
	ds_read_b128 v[15:18], v14 offset:8432
	s_waitcnt lgkmcnt(0)
	v_mul_f64 v[19:20], v[17:18], v[17:18]
	v_fma_f64 v[35:36], v[15:16], v[15:16], v[19:20]
	v_div_scale_f64 v[37:38], s[12:13], v[35:36], v[35:36], 1.0
	v_div_scale_f64 v[41:42], vcc, 1.0, v[35:36], 1.0
	v_rcp_f64_e32 v[19:20], v[37:38]
	v_fma_f64 v[21:22], -v[37:38], v[19:20], 1.0
	v_fma_f64 v[39:40], v[19:20], v[21:22], v[19:20]
	ds_read_b128 v[19:22], v14 offset:240
	ds_read_b128 v[23:26], v14 offset:24560
	;; [unrolled: 1-line block ×4, first 2 shown]
	s_waitcnt lgkmcnt(2)
	v_mul_f64 v[45:46], v[25:26], v[19:20]
	v_mul_f64 v[25:26], v[25:26], -v[21:22]
	v_fma_f64 v[43:44], -v[37:38], v[39:40], 1.0
	v_fma_f64 v[21:22], v[21:22], v[23:24], v[45:46]
	v_fma_f64 v[19:20], v[19:20], v[23:24], v[25:26]
	;; [unrolled: 1-line block ×3, first 2 shown]
	s_waitcnt lgkmcnt(0)
	v_mul_f64 v[43:44], v[33:34], v[27:28]
	v_mul_f64 v[33:34], v[33:34], -v[29:30]
	v_add_f64 v[3:4], v[3:4], -v[21:22]
	v_add_f64 v[1:2], v[1:2], -v[19:20]
	v_mul_f64 v[45:46], v[41:42], v[39:40]
	v_fma_f64 v[23:24], v[29:30], v[31:32], v[43:44]
	v_fma_f64 v[21:22], v[27:28], v[31:32], v[33:34]
	v_fma_f64 v[25:26], -v[37:38], v[45:46], v[41:42]
	v_add_f64 v[3:4], v[3:4], -v[23:24]
	v_add_f64 v[1:2], v[1:2], -v[21:22]
	v_div_fmas_f64 v[19:20], v[25:26], v[39:40], v[45:46]
	v_mul_f64 v[21:22], v[17:18], v[3:4]
	v_mul_f64 v[17:18], v[17:18], -v[1:2]
	v_fma_f64 v[1:2], v[1:2], v[15:16], v[21:22]
	v_fma_f64 v[3:4], v[3:4], v[15:16], v[17:18]
	v_div_fixup_f64 v[19:20], v[19:20], v[35:36], 1.0
	v_mul_f64 v[1:2], v[1:2], v[19:20]
	v_mul_f64 v[3:4], v[19:20], v[3:4]
	ds_write_b128 v14, v[1:4] offset:24816
                                        ; implicit-def: $vgpr14
                                        ; implicit-def: $vgpr1_vgpr2
.LBB93_24:
	s_andn2_saveexec_b64 s[10:11], s[10:11]
	s_cbranch_execz .LBB93_26
; %bb.25:
	ds_read_b128 v[15:18], v14 offset:8432
	s_waitcnt lgkmcnt(0)
	v_mul_f64 v[19:20], v[17:18], v[17:18]
	v_fma_f64 v[27:28], v[15:16], v[15:16], v[19:20]
	v_div_scale_f64 v[29:30], s[10:11], v[27:28], v[27:28], 1.0
	v_div_scale_f64 v[31:32], vcc, 1.0, v[27:28], 1.0
	v_rcp_f64_e32 v[19:20], v[29:30]
	v_fma_f64 v[21:22], -v[29:30], v[19:20], 1.0
	v_fma_f64 v[23:24], v[19:20], v[21:22], v[19:20]
	ds_read_b128 v[19:22], v14 offset:16624
	v_fma_f64 v[25:26], -v[29:30], v[23:24], 1.0
	v_fma_f64 v[33:34], v[23:24], v[25:26], v[23:24]
	ds_read_b128 v[23:26], v14 offset:25072
	s_waitcnt lgkmcnt(0)
	v_mul_f64 v[35:36], v[25:26], v[19:20]
	v_mul_f64 v[25:26], v[25:26], -v[21:22]
	v_mul_f64 v[37:38], v[31:32], v[33:34]
	v_fma_f64 v[21:22], v[21:22], v[23:24], v[35:36]
	v_fma_f64 v[19:20], v[19:20], v[23:24], v[25:26]
	v_fma_f64 v[29:30], -v[29:30], v[37:38], v[31:32]
	v_add_f64 v[3:4], v[3:4], -v[21:22]
	v_add_f64 v[1:2], v[1:2], -v[19:20]
	v_div_fmas_f64 v[21:22], v[29:30], v[33:34], v[37:38]
	v_mul_f64 v[19:20], v[3:4], v[17:18]
	v_mul_f64 v[17:18], v[17:18], -v[1:2]
	v_fma_f64 v[1:2], v[1:2], v[15:16], v[19:20]
	v_fma_f64 v[3:4], v[3:4], v[15:16], v[17:18]
	v_div_fixup_f64 v[19:20], v[21:22], v[27:28], 1.0
	v_mul_f64 v[1:2], v[1:2], v[19:20]
	v_mul_f64 v[3:4], v[3:4], v[19:20]
	ds_write_b128 v14, v[1:4] offset:24816
.LBB93_26:
	s_or_b64 exec, exec, s[8:9]
	v_cmp_gt_u32_e32 vcc, 32, v0
	s_waitcnt lgkmcnt(0)
	s_barrier
	s_and_saveexec_b64 s[8:9], vcc
	s_cbranch_execz .LBB93_31
; %bb.27:
	ds_read_b128 v[1:4], v10 offset:32880
	v_lshlrev_b32_e32 v9, 4, v9
	s_and_saveexec_b64 s[10:11], s[0:1]
	s_xor_b64 s[10:11], exec, s[10:11]
	s_cbranch_execz .LBB93_29
; %bb.28:
	ds_read_b128 v[14:17], v9 offset:8304
	s_waitcnt lgkmcnt(0)
	v_mul_f64 v[18:19], v[16:17], v[16:17]
	v_fma_f64 v[34:35], v[14:15], v[14:15], v[18:19]
	v_div_scale_f64 v[36:37], s[12:13], v[34:35], v[34:35], 1.0
	v_div_scale_f64 v[40:41], vcc, 1.0, v[34:35], 1.0
	v_rcp_f64_e32 v[18:19], v[36:37]
	v_fma_f64 v[20:21], -v[36:37], v[18:19], 1.0
	v_fma_f64 v[38:39], v[18:19], v[20:21], v[18:19]
	ds_read_b128 v[18:21], v9 offset:112
	ds_read_b128 v[22:25], v9 offset:24560
	;; [unrolled: 1-line block ×4, first 2 shown]
	s_waitcnt lgkmcnt(2)
	v_mul_f64 v[44:45], v[24:25], v[18:19]
	v_mul_f64 v[24:25], v[24:25], -v[20:21]
	v_fma_f64 v[42:43], -v[36:37], v[38:39], 1.0
	v_fma_f64 v[20:21], v[20:21], v[22:23], v[44:45]
	v_fma_f64 v[18:19], v[18:19], v[22:23], v[24:25]
	;; [unrolled: 1-line block ×3, first 2 shown]
	s_waitcnt lgkmcnt(0)
	v_mul_f64 v[42:43], v[32:33], v[26:27]
	v_mul_f64 v[32:33], v[32:33], -v[28:29]
	v_add_f64 v[3:4], v[3:4], -v[20:21]
	v_add_f64 v[1:2], v[1:2], -v[18:19]
	v_mul_f64 v[44:45], v[40:41], v[38:39]
	v_fma_f64 v[22:23], v[28:29], v[30:31], v[42:43]
	v_fma_f64 v[20:21], v[26:27], v[30:31], v[32:33]
	v_fma_f64 v[24:25], -v[36:37], v[44:45], v[40:41]
	v_add_f64 v[3:4], v[3:4], -v[22:23]
	v_add_f64 v[1:2], v[1:2], -v[20:21]
	v_div_fmas_f64 v[18:19], v[24:25], v[38:39], v[44:45]
	v_mul_f64 v[20:21], v[16:17], v[3:4]
	v_mul_f64 v[16:17], v[16:17], -v[1:2]
	v_fma_f64 v[1:2], v[1:2], v[14:15], v[20:21]
	v_fma_f64 v[3:4], v[3:4], v[14:15], v[16:17]
	v_div_fixup_f64 v[18:19], v[18:19], v[34:35], 1.0
	v_mul_f64 v[1:2], v[1:2], v[18:19]
	v_mul_f64 v[3:4], v[18:19], v[3:4]
	ds_write_b128 v9, v[1:4] offset:24688
                                        ; implicit-def: $vgpr9
                                        ; implicit-def: $vgpr1_vgpr2
.LBB93_29:
	s_andn2_saveexec_b64 s[10:11], s[10:11]
	s_cbranch_execz .LBB93_31
; %bb.30:
	ds_read_b128 v[14:17], v9 offset:8304
	s_waitcnt lgkmcnt(0)
	v_mul_f64 v[18:19], v[16:17], v[16:17]
	v_fma_f64 v[26:27], v[14:15], v[14:15], v[18:19]
	v_div_scale_f64 v[28:29], s[10:11], v[26:27], v[26:27], 1.0
	v_div_scale_f64 v[30:31], vcc, 1.0, v[26:27], 1.0
	v_rcp_f64_e32 v[18:19], v[28:29]
	v_fma_f64 v[20:21], -v[28:29], v[18:19], 1.0
	v_fma_f64 v[22:23], v[18:19], v[20:21], v[18:19]
	ds_read_b128 v[18:21], v9 offset:16496
	v_fma_f64 v[24:25], -v[28:29], v[22:23], 1.0
	v_fma_f64 v[32:33], v[22:23], v[24:25], v[22:23]
	ds_read_b128 v[22:25], v9 offset:24816
	s_waitcnt lgkmcnt(0)
	v_mul_f64 v[34:35], v[24:25], v[18:19]
	v_mul_f64 v[24:25], v[24:25], -v[20:21]
	v_mul_f64 v[36:37], v[30:31], v[32:33]
	v_fma_f64 v[20:21], v[20:21], v[22:23], v[34:35]
	v_fma_f64 v[18:19], v[18:19], v[22:23], v[24:25]
	v_fma_f64 v[28:29], -v[28:29], v[36:37], v[30:31]
	v_add_f64 v[3:4], v[3:4], -v[20:21]
	v_add_f64 v[1:2], v[1:2], -v[18:19]
	v_div_fmas_f64 v[20:21], v[28:29], v[32:33], v[36:37]
	v_mul_f64 v[18:19], v[3:4], v[16:17]
	v_mul_f64 v[16:17], v[16:17], -v[1:2]
	v_fma_f64 v[1:2], v[1:2], v[14:15], v[18:19]
	v_fma_f64 v[3:4], v[3:4], v[14:15], v[16:17]
	v_div_fixup_f64 v[18:19], v[20:21], v[26:27], 1.0
	v_mul_f64 v[1:2], v[1:2], v[18:19]
	v_mul_f64 v[3:4], v[3:4], v[18:19]
	ds_write_b128 v9, v[1:4] offset:24688
.LBB93_31:
	s_or_b64 exec, exec, s[8:9]
	v_cmp_gt_u32_e32 vcc, 64, v0
	s_waitcnt lgkmcnt(0)
	s_barrier
	s_and_saveexec_b64 s[8:9], vcc
	s_cbranch_execz .LBB93_36
; %bb.32:
	ds_read_b128 v[1:4], v13 offset:32816
	v_lshlrev_b32_e32 v9, 3, v0
	v_lshlrev_b32_e32 v9, 4, v9
	s_and_saveexec_b64 s[10:11], s[0:1]
	s_xor_b64 s[10:11], exec, s[10:11]
	s_cbranch_execz .LBB93_34
; %bb.33:
	ds_read_b128 v[13:16], v9 offset:8240
	s_waitcnt lgkmcnt(0)
	v_mul_f64 v[17:18], v[15:16], v[15:16]
	v_fma_f64 v[33:34], v[13:14], v[13:14], v[17:18]
	v_div_scale_f64 v[35:36], s[12:13], v[33:34], v[33:34], 1.0
	v_div_scale_f64 v[39:40], vcc, 1.0, v[33:34], 1.0
	v_rcp_f64_e32 v[17:18], v[35:36]
	v_fma_f64 v[19:20], -v[35:36], v[17:18], 1.0
	v_fma_f64 v[37:38], v[17:18], v[19:20], v[17:18]
	ds_read_b128 v[17:20], v9 offset:48
	ds_read_b128 v[21:24], v9 offset:24560
	;; [unrolled: 1-line block ×4, first 2 shown]
	s_waitcnt lgkmcnt(2)
	v_mul_f64 v[43:44], v[23:24], v[17:18]
	v_mul_f64 v[23:24], v[23:24], -v[19:20]
	v_fma_f64 v[41:42], -v[35:36], v[37:38], 1.0
	v_fma_f64 v[19:20], v[19:20], v[21:22], v[43:44]
	v_fma_f64 v[17:18], v[17:18], v[21:22], v[23:24]
	v_fma_f64 v[37:38], v[37:38], v[41:42], v[37:38]
	s_waitcnt lgkmcnt(0)
	v_mul_f64 v[41:42], v[31:32], v[25:26]
	v_mul_f64 v[31:32], v[31:32], -v[27:28]
	v_add_f64 v[3:4], v[3:4], -v[19:20]
	v_add_f64 v[1:2], v[1:2], -v[17:18]
	v_mul_f64 v[43:44], v[39:40], v[37:38]
	v_fma_f64 v[21:22], v[27:28], v[29:30], v[41:42]
	v_fma_f64 v[19:20], v[25:26], v[29:30], v[31:32]
	v_fma_f64 v[23:24], -v[35:36], v[43:44], v[39:40]
	v_add_f64 v[3:4], v[3:4], -v[21:22]
	v_add_f64 v[1:2], v[1:2], -v[19:20]
	v_div_fmas_f64 v[17:18], v[23:24], v[37:38], v[43:44]
	v_mul_f64 v[19:20], v[15:16], v[3:4]
	v_mul_f64 v[15:16], v[15:16], -v[1:2]
	v_fma_f64 v[1:2], v[1:2], v[13:14], v[19:20]
	v_fma_f64 v[3:4], v[3:4], v[13:14], v[15:16]
	v_div_fixup_f64 v[17:18], v[17:18], v[33:34], 1.0
	v_mul_f64 v[1:2], v[1:2], v[17:18]
	v_mul_f64 v[3:4], v[17:18], v[3:4]
	ds_write_b128 v9, v[1:4] offset:24624
                                        ; implicit-def: $vgpr9
                                        ; implicit-def: $vgpr1_vgpr2
.LBB93_34:
	s_andn2_saveexec_b64 s[10:11], s[10:11]
	s_cbranch_execz .LBB93_36
; %bb.35:
	ds_read_b128 v[13:16], v9 offset:8240
	s_waitcnt lgkmcnt(0)
	v_mul_f64 v[17:18], v[15:16], v[15:16]
	v_fma_f64 v[25:26], v[13:14], v[13:14], v[17:18]
	v_div_scale_f64 v[27:28], s[10:11], v[25:26], v[25:26], 1.0
	v_div_scale_f64 v[29:30], vcc, 1.0, v[25:26], 1.0
	v_rcp_f64_e32 v[17:18], v[27:28]
	v_fma_f64 v[19:20], -v[27:28], v[17:18], 1.0
	v_fma_f64 v[21:22], v[17:18], v[19:20], v[17:18]
	ds_read_b128 v[17:20], v9 offset:16432
	v_fma_f64 v[23:24], -v[27:28], v[21:22], 1.0
	v_fma_f64 v[31:32], v[21:22], v[23:24], v[21:22]
	ds_read_b128 v[21:24], v9 offset:24688
	s_waitcnt lgkmcnt(0)
	v_mul_f64 v[33:34], v[23:24], v[17:18]
	v_mul_f64 v[23:24], v[23:24], -v[19:20]
	v_mul_f64 v[35:36], v[29:30], v[31:32]
	v_fma_f64 v[19:20], v[19:20], v[21:22], v[33:34]
	v_fma_f64 v[17:18], v[17:18], v[21:22], v[23:24]
	v_fma_f64 v[27:28], -v[27:28], v[35:36], v[29:30]
	v_add_f64 v[3:4], v[3:4], -v[19:20]
	v_add_f64 v[1:2], v[1:2], -v[17:18]
	v_div_fmas_f64 v[19:20], v[27:28], v[31:32], v[35:36]
	v_mul_f64 v[17:18], v[3:4], v[15:16]
	v_mul_f64 v[15:16], v[15:16], -v[1:2]
	v_fma_f64 v[1:2], v[1:2], v[13:14], v[17:18]
	v_fma_f64 v[3:4], v[3:4], v[13:14], v[15:16]
	v_div_fixup_f64 v[17:18], v[19:20], v[25:26], 1.0
	v_mul_f64 v[1:2], v[1:2], v[17:18]
	v_mul_f64 v[3:4], v[3:4], v[17:18]
	ds_write_b128 v9, v[1:4] offset:24624
.LBB93_36:
	s_or_b64 exec, exec, s[8:9]
	s_movk_i32 s6, 0x80
	v_cmp_gt_u32_e32 vcc, s6, v0
	s_waitcnt lgkmcnt(0)
	s_barrier
	s_and_saveexec_b64 s[8:9], vcc
	s_cbranch_execz .LBB93_41
; %bb.37:
	ds_read_b128 v[1:4], v12 offset:32784
	v_lshlrev_b32_e32 v9, 2, v0
	v_lshlrev_b32_e32 v9, 4, v9
	s_and_saveexec_b64 s[10:11], s[0:1]
	s_xor_b64 s[10:11], exec, s[10:11]
	s_cbranch_execz .LBB93_39
; %bb.38:
	ds_read_b128 v[12:15], v9 offset:8208
	s_waitcnt lgkmcnt(0)
	v_mul_f64 v[16:17], v[14:15], v[14:15]
	v_fma_f64 v[32:33], v[12:13], v[12:13], v[16:17]
	v_div_scale_f64 v[34:35], s[12:13], v[32:33], v[32:33], 1.0
	v_div_scale_f64 v[38:39], vcc, 1.0, v[32:33], 1.0
	v_rcp_f64_e32 v[16:17], v[34:35]
	v_fma_f64 v[18:19], -v[34:35], v[16:17], 1.0
	v_fma_f64 v[36:37], v[16:17], v[18:19], v[16:17]
	ds_read_b128 v[16:19], v9 offset:16
	ds_read_b128 v[20:23], v9 offset:24560
	;; [unrolled: 1-line block ×4, first 2 shown]
	s_waitcnt lgkmcnt(2)
	v_mul_f64 v[42:43], v[22:23], v[16:17]
	v_mul_f64 v[22:23], v[22:23], -v[18:19]
	v_fma_f64 v[40:41], -v[34:35], v[36:37], 1.0
	v_fma_f64 v[18:19], v[18:19], v[20:21], v[42:43]
	v_fma_f64 v[16:17], v[16:17], v[20:21], v[22:23]
	;; [unrolled: 1-line block ×3, first 2 shown]
	s_waitcnt lgkmcnt(0)
	v_mul_f64 v[40:41], v[30:31], v[24:25]
	v_mul_f64 v[30:31], v[30:31], -v[26:27]
	v_add_f64 v[3:4], v[3:4], -v[18:19]
	v_add_f64 v[1:2], v[1:2], -v[16:17]
	v_mul_f64 v[42:43], v[38:39], v[36:37]
	v_fma_f64 v[20:21], v[26:27], v[28:29], v[40:41]
	v_fma_f64 v[18:19], v[24:25], v[28:29], v[30:31]
	v_fma_f64 v[22:23], -v[34:35], v[42:43], v[38:39]
	v_add_f64 v[3:4], v[3:4], -v[20:21]
	v_add_f64 v[1:2], v[1:2], -v[18:19]
	v_div_fmas_f64 v[16:17], v[22:23], v[36:37], v[42:43]
	v_mul_f64 v[18:19], v[14:15], v[3:4]
	v_mul_f64 v[14:15], v[14:15], -v[1:2]
	v_fma_f64 v[1:2], v[1:2], v[12:13], v[18:19]
	v_fma_f64 v[3:4], v[3:4], v[12:13], v[14:15]
	v_div_fixup_f64 v[16:17], v[16:17], v[32:33], 1.0
	v_mul_f64 v[1:2], v[1:2], v[16:17]
	v_mul_f64 v[3:4], v[16:17], v[3:4]
	ds_write_b128 v9, v[1:4] offset:24592
                                        ; implicit-def: $vgpr9
                                        ; implicit-def: $vgpr1_vgpr2
.LBB93_39:
	s_andn2_saveexec_b64 s[10:11], s[10:11]
	s_cbranch_execz .LBB93_41
; %bb.40:
	ds_read_b128 v[12:15], v9 offset:8208
	s_waitcnt lgkmcnt(0)
	v_mul_f64 v[16:17], v[14:15], v[14:15]
	v_fma_f64 v[24:25], v[12:13], v[12:13], v[16:17]
	v_div_scale_f64 v[26:27], s[10:11], v[24:25], v[24:25], 1.0
	v_div_scale_f64 v[28:29], vcc, 1.0, v[24:25], 1.0
	v_rcp_f64_e32 v[16:17], v[26:27]
	v_fma_f64 v[18:19], -v[26:27], v[16:17], 1.0
	v_fma_f64 v[20:21], v[16:17], v[18:19], v[16:17]
	ds_read_b128 v[16:19], v9 offset:16400
	v_fma_f64 v[22:23], -v[26:27], v[20:21], 1.0
	v_fma_f64 v[30:31], v[20:21], v[22:23], v[20:21]
	ds_read_b128 v[20:23], v9 offset:24624
	s_waitcnt lgkmcnt(0)
	v_mul_f64 v[32:33], v[22:23], v[16:17]
	v_mul_f64 v[22:23], v[22:23], -v[18:19]
	v_mul_f64 v[34:35], v[28:29], v[30:31]
	v_fma_f64 v[18:19], v[18:19], v[20:21], v[32:33]
	v_fma_f64 v[16:17], v[16:17], v[20:21], v[22:23]
	v_fma_f64 v[26:27], -v[26:27], v[34:35], v[28:29]
	v_add_f64 v[3:4], v[3:4], -v[18:19]
	v_add_f64 v[1:2], v[1:2], -v[16:17]
	v_div_fmas_f64 v[18:19], v[26:27], v[30:31], v[34:35]
	v_mul_f64 v[16:17], v[3:4], v[14:15]
	v_mul_f64 v[14:15], v[14:15], -v[1:2]
	v_fma_f64 v[1:2], v[1:2], v[12:13], v[16:17]
	v_fma_f64 v[3:4], v[3:4], v[12:13], v[14:15]
	v_div_fixup_f64 v[16:17], v[18:19], v[24:25], 1.0
	v_mul_f64 v[1:2], v[1:2], v[16:17]
	v_mul_f64 v[3:4], v[3:4], v[16:17]
	ds_write_b128 v9, v[1:4] offset:24592
.LBB93_41:
	s_or_b64 exec, exec, s[8:9]
	s_movk_i32 s6, 0x100
	v_cmp_gt_u32_e32 vcc, s6, v0
	s_waitcnt lgkmcnt(0)
	s_barrier
	s_and_saveexec_b64 s[8:9], vcc
	s_cbranch_execz .LBB93_46
; %bb.42:
	ds_read_b128 v[1:4], v11 offset:32768
	v_lshlrev_b32_e32 v0, 1, v0
	v_lshlrev_b32_e32 v0, 4, v0
	s_and_saveexec_b64 s[10:11], s[0:1]
	s_xor_b64 s[0:1], exec, s[10:11]
	s_cbranch_execz .LBB93_44
; %bb.43:
	ds_read_b128 v[9:12], v0 offset:8192
	s_waitcnt lgkmcnt(0)
	v_mul_f64 v[13:14], v[11:12], v[11:12]
	v_fma_f64 v[29:30], v[9:10], v[9:10], v[13:14]
	v_div_scale_f64 v[31:32], s[10:11], v[29:30], v[29:30], 1.0
	v_div_scale_f64 v[35:36], vcc, 1.0, v[29:30], 1.0
	v_rcp_f64_e32 v[13:14], v[31:32]
	v_fma_f64 v[15:16], -v[31:32], v[13:14], 1.0
	v_fma_f64 v[33:34], v[13:14], v[15:16], v[13:14]
	ds_read_b128 v[13:16], v0
	ds_read_b128 v[17:20], v0 offset:24560
	ds_read_b128 v[21:24], v0 offset:16384
	;; [unrolled: 1-line block ×3, first 2 shown]
	s_waitcnt lgkmcnt(2)
	v_mul_f64 v[39:40], v[19:20], v[13:14]
	v_mul_f64 v[19:20], v[19:20], -v[15:16]
	v_fma_f64 v[37:38], -v[31:32], v[33:34], 1.0
	v_fma_f64 v[15:16], v[15:16], v[17:18], v[39:40]
	v_fma_f64 v[13:14], v[13:14], v[17:18], v[19:20]
	;; [unrolled: 1-line block ×3, first 2 shown]
	s_waitcnt lgkmcnt(0)
	v_mul_f64 v[37:38], v[27:28], v[21:22]
	v_mul_f64 v[27:28], v[27:28], -v[23:24]
	v_add_f64 v[3:4], v[3:4], -v[15:16]
	v_add_f64 v[1:2], v[1:2], -v[13:14]
	v_mul_f64 v[39:40], v[35:36], v[33:34]
	v_fma_f64 v[17:18], v[23:24], v[25:26], v[37:38]
	v_fma_f64 v[15:16], v[21:22], v[25:26], v[27:28]
	v_fma_f64 v[19:20], -v[31:32], v[39:40], v[35:36]
	v_add_f64 v[3:4], v[3:4], -v[17:18]
	v_add_f64 v[1:2], v[1:2], -v[15:16]
	v_div_fmas_f64 v[13:14], v[19:20], v[33:34], v[39:40]
	v_mul_f64 v[15:16], v[11:12], v[3:4]
	v_mul_f64 v[11:12], v[11:12], -v[1:2]
	v_fma_f64 v[1:2], v[1:2], v[9:10], v[15:16]
	v_fma_f64 v[3:4], v[3:4], v[9:10], v[11:12]
	v_div_fixup_f64 v[13:14], v[13:14], v[29:30], 1.0
	v_mul_f64 v[1:2], v[1:2], v[13:14]
	v_mul_f64 v[3:4], v[13:14], v[3:4]
	ds_write_b128 v0, v[1:4] offset:24576
                                        ; implicit-def: $vgpr0
                                        ; implicit-def: $vgpr1_vgpr2
.LBB93_44:
	s_andn2_saveexec_b64 s[0:1], s[0:1]
	s_cbranch_execz .LBB93_46
; %bb.45:
	ds_read_b128 v[9:12], v0 offset:8192
	s_waitcnt lgkmcnt(0)
	v_mul_f64 v[13:14], v[11:12], v[11:12]
	v_fma_f64 v[21:22], v[9:10], v[9:10], v[13:14]
	v_div_scale_f64 v[23:24], s[0:1], v[21:22], v[21:22], 1.0
	v_div_scale_f64 v[25:26], vcc, 1.0, v[21:22], 1.0
	v_rcp_f64_e32 v[13:14], v[23:24]
	v_fma_f64 v[15:16], -v[23:24], v[13:14], 1.0
	v_fma_f64 v[17:18], v[13:14], v[15:16], v[13:14]
	ds_read_b128 v[13:16], v0 offset:16384
	v_fma_f64 v[19:20], -v[23:24], v[17:18], 1.0
	v_fma_f64 v[27:28], v[17:18], v[19:20], v[17:18]
	ds_read_b128 v[17:20], v0 offset:24592
	s_waitcnt lgkmcnt(0)
	v_mul_f64 v[29:30], v[19:20], v[13:14]
	v_mul_f64 v[19:20], v[19:20], -v[15:16]
	v_mul_f64 v[31:32], v[25:26], v[27:28]
	v_fma_f64 v[15:16], v[15:16], v[17:18], v[29:30]
	v_fma_f64 v[13:14], v[13:14], v[17:18], v[19:20]
	v_fma_f64 v[23:24], -v[23:24], v[31:32], v[25:26]
	v_add_f64 v[3:4], v[3:4], -v[15:16]
	v_add_f64 v[1:2], v[1:2], -v[13:14]
	v_div_fmas_f64 v[15:16], v[23:24], v[27:28], v[31:32]
	v_mul_f64 v[13:14], v[3:4], v[11:12]
	v_mul_f64 v[11:12], v[11:12], -v[1:2]
	v_fma_f64 v[1:2], v[1:2], v[9:10], v[13:14]
	v_fma_f64 v[3:4], v[3:4], v[9:10], v[11:12]
	v_div_fixup_f64 v[13:14], v[15:16], v[21:22], 1.0
	v_mul_f64 v[1:2], v[1:2], v[13:14]
	v_mul_f64 v[3:4], v[3:4], v[13:14]
	ds_write_b128 v0, v[1:4] offset:24576
.LBB93_46:
	s_or_b64 exec, exec, s[8:9]
	s_load_dword s0, s[4:5], 0x8
	s_waitcnt lgkmcnt(0)
	v_mov_b32_e32 v4, 0
	s_barrier
	s_mul_i32 s0, s0, s7
	v_add_u32_e32 v3, s0, v5
	v_lshlrev_b64 v[9:10], 4, v[3:4]
	ds_read2_b64 v[0:3], v8 offset1:1
	v_mov_b32_e32 v5, s3
	v_add_co_u32_e32 v12, vcc, s2, v9
	v_addc_co_u32_e32 v13, vcc, v5, v10, vcc
	ds_read2_b64 v[8:11], v6 offset1:1
	s_waitcnt lgkmcnt(1)
	global_store_dwordx4 v[12:13], v[0:3], off
	s_nop 0
	v_add_u32_e32 v3, s0, v7
	v_lshlrev_b64 v[0:1], 4, v[3:4]
	v_mov_b32_e32 v2, s3
	v_add_co_u32_e32 v0, vcc, s2, v0
	v_addc_co_u32_e32 v1, vcc, v2, v1, vcc
	s_waitcnt lgkmcnt(0)
	global_store_dwordx4 v[0:1], v[8:11], off
	s_endpgm
	.section	.rodata,"a",@progbits
	.p2align	6, 0x0
	.amdhsa_kernel _ZN9rocsparseL34gtsv_nopivot_cr_pow2_stage2_kernelILj256E21rocsparse_complex_numIdEEEviiiPKT0_S5_S5_S5_PS3_
		.amdhsa_group_segment_fixed_size 40960
		.amdhsa_private_segment_fixed_size 0
		.amdhsa_kernarg_size 312
		.amdhsa_user_sgpr_count 6
		.amdhsa_user_sgpr_private_segment_buffer 1
		.amdhsa_user_sgpr_dispatch_ptr 0
		.amdhsa_user_sgpr_queue_ptr 0
		.amdhsa_user_sgpr_kernarg_segment_ptr 1
		.amdhsa_user_sgpr_dispatch_id 0
		.amdhsa_user_sgpr_flat_scratch_init 0
		.amdhsa_user_sgpr_private_segment_size 0
		.amdhsa_uses_dynamic_stack 0
		.amdhsa_system_sgpr_private_segment_wavefront_offset 0
		.amdhsa_system_sgpr_workgroup_id_x 1
		.amdhsa_system_sgpr_workgroup_id_y 1
		.amdhsa_system_sgpr_workgroup_id_z 0
		.amdhsa_system_sgpr_workgroup_info 0
		.amdhsa_system_vgpr_workitem_id 0
		.amdhsa_next_free_vgpr 129
		.amdhsa_next_free_sgpr 98
		.amdhsa_reserve_vcc 1
		.amdhsa_reserve_flat_scratch 0
		.amdhsa_float_round_mode_32 0
		.amdhsa_float_round_mode_16_64 0
		.amdhsa_float_denorm_mode_32 3
		.amdhsa_float_denorm_mode_16_64 3
		.amdhsa_dx10_clamp 1
		.amdhsa_ieee_mode 1
		.amdhsa_fp16_overflow 0
		.amdhsa_exception_fp_ieee_invalid_op 0
		.amdhsa_exception_fp_denorm_src 0
		.amdhsa_exception_fp_ieee_div_zero 0
		.amdhsa_exception_fp_ieee_overflow 0
		.amdhsa_exception_fp_ieee_underflow 0
		.amdhsa_exception_fp_ieee_inexact 0
		.amdhsa_exception_int_div_zero 0
	.end_amdhsa_kernel
	.section	.text._ZN9rocsparseL34gtsv_nopivot_cr_pow2_stage2_kernelILj256E21rocsparse_complex_numIdEEEviiiPKT0_S5_S5_S5_PS3_,"axG",@progbits,_ZN9rocsparseL34gtsv_nopivot_cr_pow2_stage2_kernelILj256E21rocsparse_complex_numIdEEEviiiPKT0_S5_S5_S5_PS3_,comdat
.Lfunc_end93:
	.size	_ZN9rocsparseL34gtsv_nopivot_cr_pow2_stage2_kernelILj256E21rocsparse_complex_numIdEEEviiiPKT0_S5_S5_S5_PS3_, .Lfunc_end93-_ZN9rocsparseL34gtsv_nopivot_cr_pow2_stage2_kernelILj256E21rocsparse_complex_numIdEEEviiiPKT0_S5_S5_S5_PS3_
                                        ; -- End function
	.set _ZN9rocsparseL34gtsv_nopivot_cr_pow2_stage2_kernelILj256E21rocsparse_complex_numIdEEEviiiPKT0_S5_S5_S5_PS3_.num_vgpr, 69
	.set _ZN9rocsparseL34gtsv_nopivot_cr_pow2_stage2_kernelILj256E21rocsparse_complex_numIdEEEviiiPKT0_S5_S5_S5_PS3_.num_agpr, 0
	.set _ZN9rocsparseL34gtsv_nopivot_cr_pow2_stage2_kernelILj256E21rocsparse_complex_numIdEEEviiiPKT0_S5_S5_S5_PS3_.numbered_sgpr, 16
	.set _ZN9rocsparseL34gtsv_nopivot_cr_pow2_stage2_kernelILj256E21rocsparse_complex_numIdEEEviiiPKT0_S5_S5_S5_PS3_.num_named_barrier, 0
	.set _ZN9rocsparseL34gtsv_nopivot_cr_pow2_stage2_kernelILj256E21rocsparse_complex_numIdEEEviiiPKT0_S5_S5_S5_PS3_.private_seg_size, 0
	.set _ZN9rocsparseL34gtsv_nopivot_cr_pow2_stage2_kernelILj256E21rocsparse_complex_numIdEEEviiiPKT0_S5_S5_S5_PS3_.uses_vcc, 1
	.set _ZN9rocsparseL34gtsv_nopivot_cr_pow2_stage2_kernelILj256E21rocsparse_complex_numIdEEEviiiPKT0_S5_S5_S5_PS3_.uses_flat_scratch, 0
	.set _ZN9rocsparseL34gtsv_nopivot_cr_pow2_stage2_kernelILj256E21rocsparse_complex_numIdEEEviiiPKT0_S5_S5_S5_PS3_.has_dyn_sized_stack, 0
	.set _ZN9rocsparseL34gtsv_nopivot_cr_pow2_stage2_kernelILj256E21rocsparse_complex_numIdEEEviiiPKT0_S5_S5_S5_PS3_.has_recursion, 0
	.set _ZN9rocsparseL34gtsv_nopivot_cr_pow2_stage2_kernelILj256E21rocsparse_complex_numIdEEEviiiPKT0_S5_S5_S5_PS3_.has_indirect_call, 0
	.section	.AMDGPU.csdata,"",@progbits
; Kernel info:
; codeLenInByte = 6784
; TotalNumSgprs: 20
; NumVgprs: 69
; ScratchSize: 0
; MemoryBound: 0
; FloatMode: 240
; IeeeMode: 1
; LDSByteSize: 40960 bytes/workgroup (compile time only)
; SGPRBlocks: 12
; VGPRBlocks: 32
; NumSGPRsForWavesPerEU: 102
; NumVGPRsForWavesPerEU: 129
; Occupancy: 1
; WaveLimiterHint : 0
; COMPUTE_PGM_RSRC2:SCRATCH_EN: 0
; COMPUTE_PGM_RSRC2:USER_SGPR: 6
; COMPUTE_PGM_RSRC2:TRAP_HANDLER: 0
; COMPUTE_PGM_RSRC2:TGID_X_EN: 1
; COMPUTE_PGM_RSRC2:TGID_Y_EN: 1
; COMPUTE_PGM_RSRC2:TGID_Z_EN: 0
; COMPUTE_PGM_RSRC2:TIDIG_COMP_CNT: 0
	.section	.text._ZN9rocsparseL32gtsv_nopivot_pcr_stage1_n_kernelILj256E21rocsparse_complex_numIdEEEviiiiPKT0_S5_S5_S5_PS3_S6_S6_S6_,"axG",@progbits,_ZN9rocsparseL32gtsv_nopivot_pcr_stage1_n_kernelILj256E21rocsparse_complex_numIdEEEviiiiPKT0_S5_S5_S5_PS3_S6_S6_S6_,comdat
	.globl	_ZN9rocsparseL32gtsv_nopivot_pcr_stage1_n_kernelILj256E21rocsparse_complex_numIdEEEviiiiPKT0_S5_S5_S5_PS3_S6_S6_S6_ ; -- Begin function _ZN9rocsparseL32gtsv_nopivot_pcr_stage1_n_kernelILj256E21rocsparse_complex_numIdEEEviiiiPKT0_S5_S5_S5_PS3_S6_S6_S6_
	.p2align	8
	.type	_ZN9rocsparseL32gtsv_nopivot_pcr_stage1_n_kernelILj256E21rocsparse_complex_numIdEEEviiiiPKT0_S5_S5_S5_PS3_S6_S6_S6_,@function
_ZN9rocsparseL32gtsv_nopivot_pcr_stage1_n_kernelILj256E21rocsparse_complex_numIdEEEviiiiPKT0_S5_S5_S5_PS3_S6_S6_S6_: ; @_ZN9rocsparseL32gtsv_nopivot_pcr_stage1_n_kernelILj256E21rocsparse_complex_numIdEEEviiiiPKT0_S5_S5_S5_PS3_S6_S6_S6_
; %bb.0:
	s_load_dwordx2 s[0:1], s[4:5], 0x0
	v_lshl_or_b32 v0, s6, 8, v0
	s_waitcnt lgkmcnt(0)
	v_cmp_gt_i32_e32 vcc, s1, v0
	s_and_saveexec_b64 s[2:3], vcc
	s_cbranch_execz .LBB94_2
; %bb.1:
	s_load_dwordx8 s[8:15], s[4:5], 0x10
	v_subrev_u32_e32 v1, s0, v0
	v_mov_b32_e32 v2, 0
	v_max_i32_e32 v1, 0, v1
	v_lshlrev_b64 v[18:19], 4, v[1:2]
	s_waitcnt lgkmcnt(0)
	v_mov_b32_e32 v2, s11
	v_add_co_u32_e32 v1, vcc, s10, v18
	v_addc_co_u32_e32 v2, vcc, v2, v19, vcc
	global_load_dwordx4 v[2:5], v[1:2], off
	v_ashrrev_i32_e32 v1, 31, v0
	v_lshlrev_b64 v[22:23], 4, v[0:1]
	v_mov_b32_e32 v1, s9
	v_add_u32_e32 v0, s0, v0
	v_mov_b32_e32 v29, s13
	v_mov_b32_e32 v30, s11
	s_load_dword s0, s[4:5], 0xc
	s_waitcnt vmcnt(0)
	v_mul_f64 v[6:7], v[4:5], v[4:5]
	v_fma_f64 v[20:21], v[2:3], v[2:3], v[6:7]
	v_add_co_u32_e32 v6, vcc, s8, v22
	v_addc_co_u32_e32 v7, vcc, v1, v23, vcc
	global_load_dwordx4 v[6:9], v[6:7], off
	v_add_co_u32_e32 v10, vcc, s8, v18
	v_div_scale_f64 v[14:15], s[2:3], v[20:21], v[20:21], 1.0
	v_addc_co_u32_e32 v11, vcc, v1, v19, vcc
	global_load_dwordx4 v[10:13], v[10:11], off
	s_add_i32 s2, s1, -1
	v_min_i32_e32 v0, s2, v0
	v_ashrrev_i32_e32 v1, 31, v0
	s_mov_b32 s3, 0
	s_waitcnt lgkmcnt(0)
	s_mul_i32 s2, s0, s7
	s_lshl_b64 s[16:17], s[2:3], 4
	s_add_u32 s0, s14, s16
	s_addc_u32 s2, s15, s17
	v_rcp_f64_e32 v[16:17], v[14:15]
	v_fma_f64 v[24:25], -v[14:15], v[16:17], 1.0
	v_fma_f64 v[16:17], v[16:17], v[24:25], v[16:17]
	v_div_scale_f64 v[24:25], vcc, 1.0, v[20:21], 1.0
	v_fma_f64 v[26:27], -v[14:15], v[16:17], 1.0
	v_fma_f64 v[16:17], v[16:17], v[26:27], v[16:17]
	v_mul_f64 v[26:27], v[24:25], v[16:17]
	v_fma_f64 v[14:15], -v[14:15], v[26:27], v[24:25]
	v_lshlrev_b64 v[24:25], 4, v[0:1]
	s_waitcnt vmcnt(1)
	v_mul_f64 v[0:1], v[4:5], v[8:9]
	v_mul_f64 v[4:5], v[4:5], -v[6:7]
	v_div_fmas_f64 v[26:27], v[14:15], v[16:17], v[26:27]
	v_add_co_u32_e32 v28, vcc, s12, v22
	v_addc_co_u32_e32 v29, vcc, v29, v23, vcc
	v_add_co_u32_e32 v14, vcc, s10, v24
	v_addc_co_u32_e32 v15, vcc, v30, v25, vcc
	global_load_dwordx4 v[14:17], v[14:15], off
	v_fma_f64 v[30:31], v[6:7], v[2:3], v[0:1]
	v_fma_f64 v[8:9], v[8:9], v[2:3], v[4:5]
	global_load_dwordx4 v[0:3], v[28:29], off
	v_mov_b32_e32 v5, s13
	v_add_co_u32_e32 v4, vcc, s12, v18
	v_div_fixup_f64 v[20:21], v[26:27], v[20:21], 1.0
	v_addc_co_u32_e32 v5, vcc, v5, v19, vcc
	v_add_co_u32_e32 v18, vcc, s0, v18
	global_load_dwordx4 v[4:7], v[4:5], off
	v_mul_f64 v[26:27], v[20:21], v[8:9]
	v_mov_b32_e32 v8, s2
	v_addc_co_u32_e32 v19, vcc, v8, v19, vcc
	v_mul_f64 v[28:29], v[20:21], v[30:31]
	s_waitcnt vmcnt(3)
	v_mul_f64 v[8:9], v[26:27], v[12:13]
	v_mul_f64 v[20:21], v[26:27], -v[10:11]
	v_fma_f64 v[8:9], -v[10:11], v[28:29], v[8:9]
	v_fma_f64 v[10:11], -v[12:13], v[28:29], v[20:21]
	global_load_dwordx4 v[18:21], v[18:19], off
	s_waitcnt vmcnt(2)
	v_mul_f64 v[30:31], v[16:17], -v[0:1]
	v_mul_f64 v[12:13], v[16:17], v[2:3]
	v_fma_f64 v[30:31], v[2:3], v[14:15], v[30:31]
	v_mul_f64 v[2:3], v[16:17], v[16:17]
	v_fma_f64 v[12:13], v[0:1], v[14:15], v[12:13]
	s_waitcnt vmcnt(1)
	v_mul_f64 v[16:17], v[26:27], v[4:5]
	v_mov_b32_e32 v1, s2
	v_add_co_u32_e32 v0, vcc, s0, v24
	v_addc_co_u32_e32 v1, vcc, v1, v25, vcc
	v_fma_f64 v[14:15], v[14:15], v[14:15], v[2:3]
	v_mul_f64 v[2:3], v[26:27], -v[6:7]
	v_fma_f64 v[16:17], v[6:7], v[28:29], v[16:17]
	v_fma_f64 v[32:33], v[4:5], v[28:29], v[2:3]
	global_load_dwordx4 v[0:3], v[0:1], off
	s_waitcnt vmcnt(1)
	v_mul_f64 v[4:5], v[26:27], -v[20:21]
	v_mul_f64 v[6:7], v[26:27], v[18:19]
	v_fma_f64 v[18:19], v[18:19], v[28:29], v[4:5]
	v_div_scale_f64 v[4:5], s[14:15], v[14:15], v[14:15], 1.0
	v_fma_f64 v[20:21], v[20:21], v[28:29], v[6:7]
	v_rcp_f64_e32 v[6:7], v[4:5]
	v_fma_f64 v[26:27], -v[4:5], v[6:7], 1.0
	v_fma_f64 v[6:7], v[6:7], v[26:27], v[6:7]
	v_fma_f64 v[26:27], -v[4:5], v[6:7], 1.0
	v_fma_f64 v[6:7], v[6:7], v[26:27], v[6:7]
	v_div_scale_f64 v[26:27], vcc, 1.0, v[14:15], 1.0
	v_mul_f64 v[28:29], v[26:27], v[6:7]
	v_fma_f64 v[4:5], -v[4:5], v[28:29], v[26:27]
	s_nop 1
	v_div_fmas_f64 v[26:27], v[4:5], v[6:7], v[28:29]
	v_mov_b32_e32 v5, s13
	v_add_co_u32_e32 v4, vcc, s12, v24
	v_addc_co_u32_e32 v5, vcc, v5, v25, vcc
	global_load_dwordx4 v[4:7], v[4:5], off
	v_div_fixup_f64 v[14:15], v[26:27], v[14:15], 1.0
	v_mul_f64 v[26:27], v[14:15], v[30:31]
	v_mul_f64 v[28:29], v[14:15], v[12:13]
	s_waitcnt vmcnt(0)
	v_mul_f64 v[12:13], v[26:27], v[6:7]
	v_mul_f64 v[14:15], v[26:27], -v[4:5]
	v_fma_f64 v[4:5], -v[4:5], v[28:29], v[12:13]
	v_mov_b32_e32 v13, s9
	v_add_co_u32_e32 v12, vcc, s8, v24
	v_addc_co_u32_e32 v13, vcc, v13, v25, vcc
	v_fma_f64 v[6:7], -v[6:7], v[28:29], v[14:15]
	global_load_dwordx4 v[12:15], v[12:13], off
	s_waitcnt vmcnt(0)
	v_mul_f64 v[24:25], v[26:27], -v[14:15]
	v_fma_f64 v[24:25], v[12:13], v[28:29], v[24:25]
	v_mul_f64 v[12:13], v[26:27], v[12:13]
	v_fma_f64 v[12:13], v[14:15], v[28:29], v[12:13]
	v_mul_f64 v[14:15], v[26:27], -v[2:3]
	v_mul_f64 v[26:27], v[26:27], v[0:1]
	v_fma_f64 v[14:15], v[0:1], v[28:29], v[14:15]
	v_mov_b32_e32 v1, s11
	v_add_co_u32_e32 v0, vcc, s10, v22
	v_addc_co_u32_e32 v1, vcc, v1, v23, vcc
	v_fma_f64 v[26:27], v[2:3], v[28:29], v[26:27]
	v_mov_b32_e32 v2, s2
	v_add_co_u32_e32 v28, vcc, s0, v22
	v_addc_co_u32_e32 v29, vcc, v2, v23, vcc
	global_load_dwordx4 v[0:3], v[0:1], off
	s_load_dwordx8 s[8:15], s[4:5], 0x30
	s_mul_i32 s2, s1, s7
	s_lshl_b64 s[0:1], s[2:3], 4
	s_waitcnt lgkmcnt(0)
	s_add_u32 s0, s14, s0
	s_addc_u32 s1, s15, s1
	s_waitcnt vmcnt(0)
	v_add_f64 v[30:31], v[0:1], -v[32:33]
	v_add_f64 v[16:17], v[2:3], -v[16:17]
	global_load_dwordx4 v[0:3], v[28:29], off
	v_mov_b32_e32 v29, s9
	v_add_co_u32_e32 v28, vcc, s8, v22
	v_addc_co_u32_e32 v29, vcc, v29, v23, vcc
	v_mov_b32_e32 v33, s11
	v_add_co_u32_e32 v32, vcc, s10, v22
	v_addc_co_u32_e32 v33, vcc, v33, v23, vcc
	v_add_co_u32_e32 v34, vcc, s12, v22
	s_waitcnt vmcnt(0)
	v_add_f64 v[18:19], v[0:1], -v[18:19]
	v_add_f64 v[20:21], v[2:3], -v[20:21]
	v_mov_b32_e32 v0, s13
	v_addc_co_u32_e32 v35, vcc, v0, v23, vcc
	v_add_f64 v[0:1], v[30:31], -v[24:25]
	v_add_f64 v[2:3], v[16:17], -v[12:13]
	v_mov_b32_e32 v17, s1
	v_add_f64 v[12:13], v[18:19], -v[14:15]
	v_add_f64 v[14:15], v[20:21], -v[26:27]
	v_add_co_u32_e32 v16, vcc, s0, v22
	v_addc_co_u32_e32 v17, vcc, v17, v23, vcc
	global_store_dwordx4 v[28:29], v[8:11], off
	global_store_dwordx4 v[34:35], v[4:7], off
	;; [unrolled: 1-line block ×4, first 2 shown]
.LBB94_2:
	s_endpgm
	.section	.rodata,"a",@progbits
	.p2align	6, 0x0
	.amdhsa_kernel _ZN9rocsparseL32gtsv_nopivot_pcr_stage1_n_kernelILj256E21rocsparse_complex_numIdEEEviiiiPKT0_S5_S5_S5_PS3_S6_S6_S6_
		.amdhsa_group_segment_fixed_size 0
		.amdhsa_private_segment_fixed_size 0
		.amdhsa_kernarg_size 80
		.amdhsa_user_sgpr_count 6
		.amdhsa_user_sgpr_private_segment_buffer 1
		.amdhsa_user_sgpr_dispatch_ptr 0
		.amdhsa_user_sgpr_queue_ptr 0
		.amdhsa_user_sgpr_kernarg_segment_ptr 1
		.amdhsa_user_sgpr_dispatch_id 0
		.amdhsa_user_sgpr_flat_scratch_init 0
		.amdhsa_user_sgpr_private_segment_size 0
		.amdhsa_uses_dynamic_stack 0
		.amdhsa_system_sgpr_private_segment_wavefront_offset 0
		.amdhsa_system_sgpr_workgroup_id_x 1
		.amdhsa_system_sgpr_workgroup_id_y 1
		.amdhsa_system_sgpr_workgroup_id_z 0
		.amdhsa_system_sgpr_workgroup_info 0
		.amdhsa_system_vgpr_workitem_id 0
		.amdhsa_next_free_vgpr 36
		.amdhsa_next_free_sgpr 18
		.amdhsa_reserve_vcc 1
		.amdhsa_reserve_flat_scratch 0
		.amdhsa_float_round_mode_32 0
		.amdhsa_float_round_mode_16_64 0
		.amdhsa_float_denorm_mode_32 3
		.amdhsa_float_denorm_mode_16_64 3
		.amdhsa_dx10_clamp 1
		.amdhsa_ieee_mode 1
		.amdhsa_fp16_overflow 0
		.amdhsa_exception_fp_ieee_invalid_op 0
		.amdhsa_exception_fp_denorm_src 0
		.amdhsa_exception_fp_ieee_div_zero 0
		.amdhsa_exception_fp_ieee_overflow 0
		.amdhsa_exception_fp_ieee_underflow 0
		.amdhsa_exception_fp_ieee_inexact 0
		.amdhsa_exception_int_div_zero 0
	.end_amdhsa_kernel
	.section	.text._ZN9rocsparseL32gtsv_nopivot_pcr_stage1_n_kernelILj256E21rocsparse_complex_numIdEEEviiiiPKT0_S5_S5_S5_PS3_S6_S6_S6_,"axG",@progbits,_ZN9rocsparseL32gtsv_nopivot_pcr_stage1_n_kernelILj256E21rocsparse_complex_numIdEEEviiiiPKT0_S5_S5_S5_PS3_S6_S6_S6_,comdat
.Lfunc_end94:
	.size	_ZN9rocsparseL32gtsv_nopivot_pcr_stage1_n_kernelILj256E21rocsparse_complex_numIdEEEviiiiPKT0_S5_S5_S5_PS3_S6_S6_S6_, .Lfunc_end94-_ZN9rocsparseL32gtsv_nopivot_pcr_stage1_n_kernelILj256E21rocsparse_complex_numIdEEEviiiiPKT0_S5_S5_S5_PS3_S6_S6_S6_
                                        ; -- End function
	.set _ZN9rocsparseL32gtsv_nopivot_pcr_stage1_n_kernelILj256E21rocsparse_complex_numIdEEEviiiiPKT0_S5_S5_S5_PS3_S6_S6_S6_.num_vgpr, 36
	.set _ZN9rocsparseL32gtsv_nopivot_pcr_stage1_n_kernelILj256E21rocsparse_complex_numIdEEEviiiiPKT0_S5_S5_S5_PS3_S6_S6_S6_.num_agpr, 0
	.set _ZN9rocsparseL32gtsv_nopivot_pcr_stage1_n_kernelILj256E21rocsparse_complex_numIdEEEviiiiPKT0_S5_S5_S5_PS3_S6_S6_S6_.numbered_sgpr, 18
	.set _ZN9rocsparseL32gtsv_nopivot_pcr_stage1_n_kernelILj256E21rocsparse_complex_numIdEEEviiiiPKT0_S5_S5_S5_PS3_S6_S6_S6_.num_named_barrier, 0
	.set _ZN9rocsparseL32gtsv_nopivot_pcr_stage1_n_kernelILj256E21rocsparse_complex_numIdEEEviiiiPKT0_S5_S5_S5_PS3_S6_S6_S6_.private_seg_size, 0
	.set _ZN9rocsparseL32gtsv_nopivot_pcr_stage1_n_kernelILj256E21rocsparse_complex_numIdEEEviiiiPKT0_S5_S5_S5_PS3_S6_S6_S6_.uses_vcc, 1
	.set _ZN9rocsparseL32gtsv_nopivot_pcr_stage1_n_kernelILj256E21rocsparse_complex_numIdEEEviiiiPKT0_S5_S5_S5_PS3_S6_S6_S6_.uses_flat_scratch, 0
	.set _ZN9rocsparseL32gtsv_nopivot_pcr_stage1_n_kernelILj256E21rocsparse_complex_numIdEEEviiiiPKT0_S5_S5_S5_PS3_S6_S6_S6_.has_dyn_sized_stack, 0
	.set _ZN9rocsparseL32gtsv_nopivot_pcr_stage1_n_kernelILj256E21rocsparse_complex_numIdEEEviiiiPKT0_S5_S5_S5_PS3_S6_S6_S6_.has_recursion, 0
	.set _ZN9rocsparseL32gtsv_nopivot_pcr_stage1_n_kernelILj256E21rocsparse_complex_numIdEEEviiiiPKT0_S5_S5_S5_PS3_S6_S6_S6_.has_indirect_call, 0
	.section	.AMDGPU.csdata,"",@progbits
; Kernel info:
; codeLenInByte = 1076
; TotalNumSgprs: 22
; NumVgprs: 36
; ScratchSize: 0
; MemoryBound: 0
; FloatMode: 240
; IeeeMode: 1
; LDSByteSize: 0 bytes/workgroup (compile time only)
; SGPRBlocks: 2
; VGPRBlocks: 8
; NumSGPRsForWavesPerEU: 22
; NumVGPRsForWavesPerEU: 36
; Occupancy: 7
; WaveLimiterHint : 0
; COMPUTE_PGM_RSRC2:SCRATCH_EN: 0
; COMPUTE_PGM_RSRC2:USER_SGPR: 6
; COMPUTE_PGM_RSRC2:TRAP_HANDLER: 0
; COMPUTE_PGM_RSRC2:TGID_X_EN: 1
; COMPUTE_PGM_RSRC2:TGID_Y_EN: 1
; COMPUTE_PGM_RSRC2:TGID_Z_EN: 0
; COMPUTE_PGM_RSRC2:TIDIG_COMP_CNT: 0
	.section	.text._ZN9rocsparseL30gtsv_nopivot_pcr_stage2_kernelILj512E21rocsparse_complex_numIdEEEviiiPKT0_S5_S5_S5_PS3_,"axG",@progbits,_ZN9rocsparseL30gtsv_nopivot_pcr_stage2_kernelILj512E21rocsparse_complex_numIdEEEviiiPKT0_S5_S5_S5_PS3_,comdat
	.globl	_ZN9rocsparseL30gtsv_nopivot_pcr_stage2_kernelILj512E21rocsparse_complex_numIdEEEviiiPKT0_S5_S5_S5_PS3_ ; -- Begin function _ZN9rocsparseL30gtsv_nopivot_pcr_stage2_kernelILj512E21rocsparse_complex_numIdEEEviiiPKT0_S5_S5_S5_PS3_
	.p2align	8
	.type	_ZN9rocsparseL30gtsv_nopivot_pcr_stage2_kernelILj512E21rocsparse_complex_numIdEEEviiiPKT0_S5_S5_S5_PS3_,@function
_ZN9rocsparseL30gtsv_nopivot_pcr_stage2_kernelILj512E21rocsparse_complex_numIdEEEviiiPKT0_S5_S5_S5_PS3_: ; @_ZN9rocsparseL30gtsv_nopivot_pcr_stage2_kernelILj512E21rocsparse_complex_numIdEEEviiiPKT0_S5_S5_S5_PS3_
; %bb.0:
	s_load_dword s2, s[4:5], 0x38
	s_load_dword s3, s[4:5], 0x0
	s_load_dwordx8 s[8:15], s[4:5], 0x10
	s_waitcnt lgkmcnt(0)
	v_mul_lo_u32 v1, s2, v0
	s_add_i32 s16, s3, s6
	s_sub_i32 s17, s16, s2
	v_mov_b32_e32 v5, s9
	v_add_u32_e32 v1, s6, v1
	v_ashrrev_i32_e32 v2, 31, v1
	v_cmp_gt_i32_e64 s[0:1], s3, v1
	v_cndmask_b32_e64 v3, 0, v2, s[0:1]
	v_mov_b32_e32 v2, s17
	v_cndmask_b32_e64 v2, v2, v1, s[0:1]
	v_lshlrev_b64 v[2:3], 4, v[2:3]
	s_mul_i32 s3, s3, s7
	v_add_co_u32_e32 v4, vcc, s8, v2
	v_addc_co_u32_e32 v5, vcc, v5, v3, vcc
	global_load_dwordx4 v[6:9], v[4:5], off
	v_mov_b32_e32 v5, s11
	v_add_co_u32_e32 v4, vcc, s10, v2
	v_addc_co_u32_e32 v5, vcc, v5, v3, vcc
	global_load_dwordx4 v[10:13], v[4:5], off
	v_mov_b32_e32 v4, s13
	v_add_co_u32_e32 v2, vcc, s12, v2
	s_add_i32 s16, s16, s3
	v_addc_co_u32_e32 v3, vcc, v4, v3, vcc
	s_sub_i32 s2, s16, s2
	global_load_dwordx4 v[14:17], v[2:3], off
	v_add_u32_e32 v2, s3, v1
	v_mov_b32_e32 v3, s2
	v_cndmask_b32_e64 v2, v3, v2, s[0:1]
	v_mov_b32_e32 v3, 0
	v_lshlrev_b64 v[2:3], 4, v[2:3]
	v_mov_b32_e32 v4, s15
	v_add_co_u32_e32 v2, vcc, s14, v2
	v_addc_co_u32_e32 v3, vcc, v4, v3, vcc
	global_load_dwordx4 v[18:21], v[2:3], off
	s_load_dwordx2 s[8:9], s[4:5], 0x30
	v_lshlrev_b32_e32 v2, 4, v0
	s_mov_b32 s6, 1
	v_or_b32_e32 v5, 0x2000, v2
	v_or_b32_e32 v4, 0x4000, v2
	;; [unrolled: 1-line block ×3, first 2 shown]
	s_mov_b32 s10, 8
	s_waitcnt vmcnt(3)
	ds_write2_b64 v2, v[6:7], v[8:9] offset1:1
	s_waitcnt vmcnt(2)
	ds_write2_b64 v5, v[10:11], v[12:13] offset1:1
	;; [unrolled: 2-line block ×4, first 2 shown]
	s_waitcnt lgkmcnt(0)
	s_barrier
.LBB95_1:                               ; =>This Inner Loop Header: Depth=1
	v_add_u32_e32 v22, s6, v0
	v_subrev_u32_e32 v23, s6, v0
	v_min_u32_e32 v22, 0x1ff, v22
	v_max_i32_e32 v23, 0, v23
	v_lshlrev_b32_e32 v42, 4, v23
	v_lshlrev_b32_e32 v50, 4, v22
	ds_read_b128 v[6:9], v2
	ds_read_b128 v[10:13], v5
	;; [unrolled: 1-line block ×4, first 2 shown]
	ds_read_b128 v[22:25], v42 offset:8192
	ds_read_b128 v[26:29], v42 offset:16384
	ds_read_b128 v[30:33], v50
	ds_read_b128 v[34:37], v50 offset:32768
	ds_read_b128 v[38:41], v42 offset:32768
	ds_read_b128 v[42:45], v42
	ds_read_b128 v[46:49], v50 offset:8192
	ds_read_b128 v[50:53], v50 offset:16384
	s_waitcnt lgkmcnt(7)
	v_mul_f64 v[54:55], v[24:25], v[24:25]
	v_mul_f64 v[56:57], v[24:25], v[8:9]
	v_mul_f64 v[24:25], v[24:25], -v[6:7]
	s_waitcnt lgkmcnt(1)
	v_mul_f64 v[58:59], v[48:49], v[48:49]
	v_mul_f64 v[60:61], v[48:49], v[16:17]
	v_mul_f64 v[48:49], v[48:49], -v[14:15]
	s_lshl_b32 s6, s6, 1
	s_add_i32 s10, s10, -1
	v_fma_f64 v[54:55], v[22:23], v[22:23], v[54:55]
	v_fma_f64 v[6:7], v[6:7], v[22:23], v[56:57]
	;; [unrolled: 1-line block ×6, first 2 shown]
	s_cmp_eq_u32 s10, 0
	s_waitcnt lgkmcnt(0)
	v_div_scale_f64 v[24:25], s[2:3], v[54:55], v[54:55], 1.0
	v_div_scale_f64 v[48:49], vcc, 1.0, v[54:55], 1.0
	v_div_scale_f64 v[46:47], s[2:3], v[22:23], v[22:23], 1.0
	v_div_scale_f64 v[56:57], s[2:3], 1.0, v[22:23], 1.0
	s_barrier
	v_rcp_f64_e32 v[58:59], v[24:25]
	v_rcp_f64_e32 v[60:61], v[46:47]
	v_fma_f64 v[62:63], -v[24:25], v[58:59], 1.0
	v_fma_f64 v[64:65], -v[46:47], v[60:61], 1.0
	v_fma_f64 v[58:59], v[58:59], v[62:63], v[58:59]
	v_fma_f64 v[60:61], v[60:61], v[64:65], v[60:61]
	v_fma_f64 v[62:63], -v[24:25], v[58:59], 1.0
	v_fma_f64 v[64:65], -v[46:47], v[60:61], 1.0
	v_fma_f64 v[58:59], v[58:59], v[62:63], v[58:59]
	v_fma_f64 v[60:61], v[60:61], v[64:65], v[60:61]
	v_mul_f64 v[62:63], v[48:49], v[58:59]
	v_mul_f64 v[64:65], v[56:57], v[60:61]
	v_fma_f64 v[24:25], -v[24:25], v[62:63], v[48:49]
	v_fma_f64 v[46:47], -v[46:47], v[64:65], v[56:57]
	v_div_fmas_f64 v[24:25], v[24:25], v[58:59], v[62:63]
	s_mov_b64 vcc, s[2:3]
	v_div_fmas_f64 v[46:47], v[46:47], v[60:61], v[64:65]
	v_div_fixup_f64 v[24:25], v[24:25], v[54:55], 1.0
	v_div_fixup_f64 v[22:23], v[46:47], v[22:23], 1.0
	v_mul_f64 v[8:9], v[24:25], v[8:9]
	v_mul_f64 v[24:25], v[24:25], v[6:7]
	;; [unrolled: 1-line block ×4, first 2 shown]
	v_mul_f64 v[14:15], v[8:9], -v[28:29]
	v_mul_f64 v[22:23], v[8:9], v[26:27]
	v_mul_f64 v[46:47], v[8:9], -v[40:41]
	v_mul_f64 v[48:49], v[8:9], v[38:39]
	v_mul_f64 v[54:55], v[8:9], v[44:45]
	v_mul_f64 v[8:9], v[8:9], -v[42:43]
	v_mul_f64 v[56:57], v[6:7], -v[32:33]
	v_mul_f64 v[58:59], v[6:7], v[30:31]
	v_fma_f64 v[26:27], v[26:27], v[24:25], v[14:15]
	v_fma_f64 v[22:23], v[28:29], v[24:25], v[22:23]
	v_mul_f64 v[60:61], v[6:7], -v[36:37]
	v_mul_f64 v[62:63], v[6:7], v[34:35]
	v_fma_f64 v[28:29], v[38:39], v[24:25], v[46:47]
	v_fma_f64 v[38:39], v[40:41], v[24:25], v[48:49]
	v_mul_f64 v[64:65], v[6:7], v[52:53]
	v_mul_f64 v[66:67], v[6:7], -v[50:51]
	v_fma_f64 v[6:7], -v[42:43], v[24:25], v[54:55]
	v_fma_f64 v[8:9], -v[44:45], v[24:25], v[8:9]
	v_fma_f64 v[24:25], v[30:31], v[16:17], v[56:57]
	v_fma_f64 v[30:31], v[32:33], v[16:17], v[58:59]
	v_add_f64 v[10:11], v[10:11], -v[26:27]
	v_add_f64 v[12:13], v[12:13], -v[22:23]
	v_fma_f64 v[32:33], v[34:35], v[16:17], v[60:61]
	v_fma_f64 v[34:35], v[36:37], v[16:17], v[62:63]
	v_add_f64 v[18:19], v[18:19], -v[28:29]
	v_add_f64 v[20:21], v[20:21], -v[38:39]
	v_fma_f64 v[14:15], -v[50:51], v[16:17], v[64:65]
	v_fma_f64 v[16:17], -v[52:53], v[16:17], v[66:67]
	v_add_f64 v[10:11], v[10:11], -v[24:25]
	v_add_f64 v[12:13], v[12:13], -v[30:31]
	;; [unrolled: 1-line block ×4, first 2 shown]
	ds_write_b128 v2, v[6:9]
	ds_write_b128 v4, v[14:17]
	;; [unrolled: 1-line block ×4, first 2 shown]
	s_waitcnt lgkmcnt(0)
	s_barrier
	s_cbranch_scc0 .LBB95_1
; %bb.2:
	s_movk_i32 s2, 0x100
	v_cmp_gt_u32_e32 vcc, s2, v0
	s_and_saveexec_b64 s[2:3], vcc
	s_cbranch_execz .LBB95_4
; %bb.3:
	ds_read_b128 v[6:9], v5
	ds_read_b128 v[10:13], v2 offset:4096
	ds_read_b128 v[14:17], v5 offset:4096
	ds_read_b128 v[18:21], v4
	s_waitcnt lgkmcnt(1)
	v_mul_f64 v[4:5], v[8:9], v[14:15]
	s_waitcnt lgkmcnt(0)
	v_mul_f64 v[22:23], v[12:13], v[18:19]
	v_mul_f64 v[24:25], v[8:9], -v[16:17]
	v_mul_f64 v[26:27], v[12:13], -v[20:21]
	v_fma_f64 v[4:5], v[16:17], v[6:7], v[4:5]
	v_fma_f64 v[22:23], v[20:21], v[10:11], v[22:23]
	;; [unrolled: 1-line block ×4, first 2 shown]
	v_add_f64 v[4:5], v[4:5], -v[22:23]
	v_add_f64 v[30:31], v[24:25], -v[26:27]
	v_mul_f64 v[22:23], v[4:5], v[4:5]
	v_fma_f64 v[32:33], v[30:31], v[30:31], v[22:23]
	v_div_scale_f64 v[22:23], s[10:11], v[32:33], v[32:33], 1.0
	v_rcp_f64_e32 v[24:25], v[22:23]
	v_fma_f64 v[26:27], -v[22:23], v[24:25], 1.0
	v_fma_f64 v[24:25], v[24:25], v[26:27], v[24:25]
	v_div_scale_f64 v[26:27], vcc, 1.0, v[32:33], 1.0
	v_fma_f64 v[28:29], -v[22:23], v[24:25], 1.0
	v_fma_f64 v[34:35], v[24:25], v[28:29], v[24:25]
	v_mul_f64 v[36:37], v[26:27], v[34:35]
	v_fma_f64 v[38:39], -v[22:23], v[36:37], v[26:27]
	ds_read_b128 v[22:25], v3
	ds_read_b128 v[26:29], v3 offset:4096
	s_waitcnt lgkmcnt(1)
	v_mul_f64 v[46:47], v[12:13], -v[24:25]
	s_waitcnt lgkmcnt(0)
	v_mul_f64 v[40:41], v[28:29], -v[20:21]
	v_mul_f64 v[42:43], v[18:19], v[28:29]
	v_div_fmas_f64 v[34:35], v[38:39], v[34:35], v[36:37]
	v_mul_f64 v[36:37], v[24:25], -v[16:17]
	v_mul_f64 v[38:39], v[14:15], v[24:25]
	v_mul_f64 v[44:45], v[8:9], -v[28:29]
	v_mul_f64 v[8:9], v[8:9], v[26:27]
	v_mul_f64 v[12:13], v[12:13], v[22:23]
	v_fma_f64 v[18:19], v[18:19], v[26:27], v[40:41]
	v_fma_f64 v[20:21], v[20:21], v[26:27], v[42:43]
	;; [unrolled: 1-line block ×4, first 2 shown]
	v_fma_f64 v[36:37], v[30:31], 0, -v[4:5]
	v_fma_f64 v[26:27], v[26:27], v[6:7], v[44:45]
	v_fma_f64 v[6:7], v[28:29], v[6:7], v[8:9]
	;; [unrolled: 1-line block ×4, first 2 shown]
	v_div_fixup_f64 v[32:33], v[34:35], v[32:33], 1.0
	v_fma_f64 v[3:4], v[4:5], 0, v[30:31]
	v_add_f64 v[12:13], v[16:17], -v[20:21]
	v_add_f64 v[14:15], v[14:15], -v[18:19]
	;; [unrolled: 1-line block ×4, first 2 shown]
	v_mul_f64 v[16:17], v[36:37], v[32:33]
	v_mul_f64 v[9:10], v[3:4], v[32:33]
	v_mul_f64 v[3:4], v[16:17], -v[12:13]
	v_mul_f64 v[5:6], v[16:17], v[14:15]
	v_mul_f64 v[20:21], v[16:17], -v[18:19]
	v_mul_f64 v[16:17], v[16:17], v[7:8]
	v_fma_f64 v[3:4], v[14:15], v[9:10], v[3:4]
	v_fma_f64 v[5:6], v[12:13], v[9:10], v[5:6]
	v_fma_f64 v[7:8], v[7:8], v[9:10], v[20:21]
	v_fma_f64 v[9:10], v[18:19], v[9:10], v[16:17]
	ds_write_b128 v2, v[3:6] offset:24576
	ds_write_b128 v2, v[7:10] offset:28672
.LBB95_4:
	s_or_b64 exec, exec, s[2:3]
	s_waitcnt lgkmcnt(0)
	s_barrier
	s_and_saveexec_b64 s[2:3], s[0:1]
	s_cbranch_execz .LBB95_6
; %bb.5:
	s_load_dword s0, s[4:5], 0x8
	v_mov_b32_e32 v3, 0x6000
	v_mov_b32_e32 v2, 0
	v_lshl_or_b32 v0, v0, 4, v3
	v_mov_b32_e32 v6, s9
	s_waitcnt lgkmcnt(0)
	s_mul_i32 s0, s0, s7
	v_add_u32_e32 v1, s0, v1
	v_lshlrev_b64 v[4:5], 4, v[1:2]
	ds_read2_b64 v[0:3], v0 offset1:1
	v_add_co_u32_e32 v4, vcc, s8, v4
	v_addc_co_u32_e32 v5, vcc, v6, v5, vcc
	s_waitcnt lgkmcnt(0)
	global_store_dwordx4 v[4:5], v[0:3], off
.LBB95_6:
	s_endpgm
	.section	.rodata,"a",@progbits
	.p2align	6, 0x0
	.amdhsa_kernel _ZN9rocsparseL30gtsv_nopivot_pcr_stage2_kernelILj512E21rocsparse_complex_numIdEEEviiiPKT0_S5_S5_S5_PS3_
		.amdhsa_group_segment_fixed_size 40960
		.amdhsa_private_segment_fixed_size 0
		.amdhsa_kernarg_size 312
		.amdhsa_user_sgpr_count 6
		.amdhsa_user_sgpr_private_segment_buffer 1
		.amdhsa_user_sgpr_dispatch_ptr 0
		.amdhsa_user_sgpr_queue_ptr 0
		.amdhsa_user_sgpr_kernarg_segment_ptr 1
		.amdhsa_user_sgpr_dispatch_id 0
		.amdhsa_user_sgpr_flat_scratch_init 0
		.amdhsa_user_sgpr_private_segment_size 0
		.amdhsa_uses_dynamic_stack 0
		.amdhsa_system_sgpr_private_segment_wavefront_offset 0
		.amdhsa_system_sgpr_workgroup_id_x 1
		.amdhsa_system_sgpr_workgroup_id_y 1
		.amdhsa_system_sgpr_workgroup_id_z 0
		.amdhsa_system_sgpr_workgroup_info 0
		.amdhsa_system_vgpr_workitem_id 0
		.amdhsa_next_free_vgpr 85
		.amdhsa_next_free_sgpr 98
		.amdhsa_reserve_vcc 1
		.amdhsa_reserve_flat_scratch 0
		.amdhsa_float_round_mode_32 0
		.amdhsa_float_round_mode_16_64 0
		.amdhsa_float_denorm_mode_32 3
		.amdhsa_float_denorm_mode_16_64 3
		.amdhsa_dx10_clamp 1
		.amdhsa_ieee_mode 1
		.amdhsa_fp16_overflow 0
		.amdhsa_exception_fp_ieee_invalid_op 0
		.amdhsa_exception_fp_denorm_src 0
		.amdhsa_exception_fp_ieee_div_zero 0
		.amdhsa_exception_fp_ieee_overflow 0
		.amdhsa_exception_fp_ieee_underflow 0
		.amdhsa_exception_fp_ieee_inexact 0
		.amdhsa_exception_int_div_zero 0
	.end_amdhsa_kernel
	.section	.text._ZN9rocsparseL30gtsv_nopivot_pcr_stage2_kernelILj512E21rocsparse_complex_numIdEEEviiiPKT0_S5_S5_S5_PS3_,"axG",@progbits,_ZN9rocsparseL30gtsv_nopivot_pcr_stage2_kernelILj512E21rocsparse_complex_numIdEEEviiiPKT0_S5_S5_S5_PS3_,comdat
.Lfunc_end95:
	.size	_ZN9rocsparseL30gtsv_nopivot_pcr_stage2_kernelILj512E21rocsparse_complex_numIdEEEviiiPKT0_S5_S5_S5_PS3_, .Lfunc_end95-_ZN9rocsparseL30gtsv_nopivot_pcr_stage2_kernelILj512E21rocsparse_complex_numIdEEEviiiPKT0_S5_S5_S5_PS3_
                                        ; -- End function
	.set _ZN9rocsparseL30gtsv_nopivot_pcr_stage2_kernelILj512E21rocsparse_complex_numIdEEEviiiPKT0_S5_S5_S5_PS3_.num_vgpr, 68
	.set _ZN9rocsparseL30gtsv_nopivot_pcr_stage2_kernelILj512E21rocsparse_complex_numIdEEEviiiPKT0_S5_S5_S5_PS3_.num_agpr, 0
	.set _ZN9rocsparseL30gtsv_nopivot_pcr_stage2_kernelILj512E21rocsparse_complex_numIdEEEviiiPKT0_S5_S5_S5_PS3_.numbered_sgpr, 18
	.set _ZN9rocsparseL30gtsv_nopivot_pcr_stage2_kernelILj512E21rocsparse_complex_numIdEEEviiiPKT0_S5_S5_S5_PS3_.num_named_barrier, 0
	.set _ZN9rocsparseL30gtsv_nopivot_pcr_stage2_kernelILj512E21rocsparse_complex_numIdEEEviiiPKT0_S5_S5_S5_PS3_.private_seg_size, 0
	.set _ZN9rocsparseL30gtsv_nopivot_pcr_stage2_kernelILj512E21rocsparse_complex_numIdEEEviiiPKT0_S5_S5_S5_PS3_.uses_vcc, 1
	.set _ZN9rocsparseL30gtsv_nopivot_pcr_stage2_kernelILj512E21rocsparse_complex_numIdEEEviiiPKT0_S5_S5_S5_PS3_.uses_flat_scratch, 0
	.set _ZN9rocsparseL30gtsv_nopivot_pcr_stage2_kernelILj512E21rocsparse_complex_numIdEEEviiiPKT0_S5_S5_S5_PS3_.has_dyn_sized_stack, 0
	.set _ZN9rocsparseL30gtsv_nopivot_pcr_stage2_kernelILj512E21rocsparse_complex_numIdEEEviiiPKT0_S5_S5_S5_PS3_.has_recursion, 0
	.set _ZN9rocsparseL30gtsv_nopivot_pcr_stage2_kernelILj512E21rocsparse_complex_numIdEEEviiiPKT0_S5_S5_S5_PS3_.has_indirect_call, 0
	.section	.AMDGPU.csdata,"",@progbits
; Kernel info:
; codeLenInByte = 1696
; TotalNumSgprs: 22
; NumVgprs: 68
; ScratchSize: 0
; MemoryBound: 0
; FloatMode: 240
; IeeeMode: 1
; LDSByteSize: 40960 bytes/workgroup (compile time only)
; SGPRBlocks: 12
; VGPRBlocks: 21
; NumSGPRsForWavesPerEU: 102
; NumVGPRsForWavesPerEU: 85
; Occupancy: 2
; WaveLimiterHint : 0
; COMPUTE_PGM_RSRC2:SCRATCH_EN: 0
; COMPUTE_PGM_RSRC2:USER_SGPR: 6
; COMPUTE_PGM_RSRC2:TRAP_HANDLER: 0
; COMPUTE_PGM_RSRC2:TGID_X_EN: 1
; COMPUTE_PGM_RSRC2:TGID_Y_EN: 1
; COMPUTE_PGM_RSRC2:TGID_Z_EN: 0
; COMPUTE_PGM_RSRC2:TIDIG_COMP_CNT: 0
	.section	.text._ZN9rocsparseL35gtsv_nopivot_pcr_pow2_stage1_kernelILj256E21rocsparse_complex_numIdEEEviiiiPKT0_S5_S5_S5_PS3_S6_S6_S6_,"axG",@progbits,_ZN9rocsparseL35gtsv_nopivot_pcr_pow2_stage1_kernelILj256E21rocsparse_complex_numIdEEEviiiiPKT0_S5_S5_S5_PS3_S6_S6_S6_,comdat
	.globl	_ZN9rocsparseL35gtsv_nopivot_pcr_pow2_stage1_kernelILj256E21rocsparse_complex_numIdEEEviiiiPKT0_S5_S5_S5_PS3_S6_S6_S6_ ; -- Begin function _ZN9rocsparseL35gtsv_nopivot_pcr_pow2_stage1_kernelILj256E21rocsparse_complex_numIdEEEviiiiPKT0_S5_S5_S5_PS3_S6_S6_S6_
	.p2align	8
	.type	_ZN9rocsparseL35gtsv_nopivot_pcr_pow2_stage1_kernelILj256E21rocsparse_complex_numIdEEEviiiiPKT0_S5_S5_S5_PS3_S6_S6_S6_,@function
_ZN9rocsparseL35gtsv_nopivot_pcr_pow2_stage1_kernelILj256E21rocsparse_complex_numIdEEEviiiiPKT0_S5_S5_S5_PS3_S6_S6_S6_: ; @_ZN9rocsparseL35gtsv_nopivot_pcr_pow2_stage1_kernelILj256E21rocsparse_complex_numIdEEEviiiiPKT0_S5_S5_S5_PS3_S6_S6_S6_
; %bb.0:
	s_load_dwordx8 s[8:15], s[4:5], 0x0
	v_lshl_or_b32 v4, s6, 8, v0
	v_mov_b32_e32 v3, 0
	v_ashrrev_i32_e32 v5, 31, v4
	s_waitcnt lgkmcnt(0)
	v_subrev_u32_e32 v0, s8, v4
	v_max_i32_e32 v2, 0, v0
	v_lshlrev_b64 v[2:3], 4, v[2:3]
	v_lshlrev_b64 v[0:1], 4, v[4:5]
	v_mov_b32_e32 v34, s15
	v_add_co_u32_e32 v5, vcc, s14, v2
	v_addc_co_u32_e32 v6, vcc, v34, v3, vcc
	global_load_dwordx4 v[6:9], v[5:6], off
	v_mov_b32_e32 v30, s13
	v_add_co_u32_e32 v10, vcc, s12, v0
	v_addc_co_u32_e32 v11, vcc, v30, v1, vcc
	global_load_dwordx4 v[10:13], v[10:11], off
	s_load_dwordx2 s[2:3], s[4:5], 0x20
	s_load_dwordx4 s[16:19], s[4:5], 0x30
	v_add_u32_e32 v4, s8, v4
	s_add_i32 s0, s9, -1
	v_min_i32_e32 v4, s0, v4
	v_ashrrev_i32_e32 v5, 31, v4
	s_waitcnt lgkmcnt(0)
	v_mov_b32_e32 v31, s3
	v_add_co_u32_e32 v14, vcc, s2, v0
	v_lshlrev_b64 v[4:5], 4, v[4:5]
	v_addc_co_u32_e32 v15, vcc, v31, v1, vcc
	v_add_co_u32_e32 v18, vcc, s14, v4
	v_addc_co_u32_e32 v19, vcc, v34, v5, vcc
	global_load_dwordx4 v[14:17], v[14:15], off
	s_cmp_lt_i32 s10, 1
	global_load_dwordx4 v[18:21], v[18:19], off
	s_waitcnt vmcnt(3)
	v_mul_f64 v[22:23], v[8:9], v[8:9]
	s_waitcnt vmcnt(2)
	v_mul_f64 v[24:25], v[8:9], v[12:13]
	v_mul_f64 v[8:9], v[8:9], -v[10:11]
	v_fma_f64 v[22:23], v[6:7], v[6:7], v[22:23]
	v_fma_f64 v[10:11], v[10:11], v[6:7], v[24:25]
	;; [unrolled: 1-line block ×3, first 2 shown]
	v_div_scale_f64 v[8:9], s[0:1], v[22:23], v[22:23], 1.0
	s_waitcnt vmcnt(0)
	v_mul_f64 v[24:25], v[20:21], v[16:17]
	v_mul_f64 v[26:27], v[20:21], -v[14:15]
	v_fma_f64 v[24:25], v[14:15], v[18:19], v[24:25]
	v_rcp_f64_e32 v[12:13], v[8:9]
	v_fma_f64 v[26:27], v[16:17], v[18:19], v[26:27]
	v_mul_f64 v[16:17], v[20:21], v[20:21]
	v_fma_f64 v[28:29], v[18:19], v[18:19], v[16:17]
	v_div_scale_f64 v[16:17], vcc, 1.0, v[22:23], 1.0
	v_fma_f64 v[14:15], -v[8:9], v[12:13], 1.0
	v_fma_f64 v[12:13], v[12:13], v[14:15], v[12:13]
	v_fma_f64 v[14:15], -v[8:9], v[12:13], 1.0
	v_fma_f64 v[12:13], v[12:13], v[14:15], v[12:13]
	v_div_scale_f64 v[14:15], s[0:1], v[28:29], v[28:29], 1.0
	v_mul_f64 v[18:19], v[16:17], v[12:13]
	v_fma_f64 v[8:9], -v[8:9], v[18:19], v[16:17]
	v_rcp_f64_e32 v[16:17], v[14:15]
	v_div_fmas_f64 v[8:9], v[8:9], v[12:13], v[18:19]
	v_div_scale_f64 v[12:13], vcc, 1.0, v[28:29], 1.0
	v_fma_f64 v[20:21], -v[14:15], v[16:17], 1.0
	v_div_fixup_f64 v[8:9], v[8:9], v[22:23], 1.0
	v_fma_f64 v[16:17], v[16:17], v[20:21], v[16:17]
	v_mul_f64 v[6:7], v[8:9], v[6:7]
	v_fma_f64 v[18:19], -v[14:15], v[16:17], 1.0
	v_mul_f64 v[8:9], v[8:9], v[10:11]
	v_fma_f64 v[16:17], v[16:17], v[18:19], v[16:17]
	v_mul_f64 v[18:19], v[12:13], v[16:17]
	v_fma_f64 v[12:13], -v[14:15], v[18:19], v[12:13]
	v_add_co_u32_e64 v14, s[0:1], s12, v2
	v_addc_co_u32_e64 v15, s[0:1], v30, v3, s[0:1]
	s_load_dwordx2 s[0:1], s[4:5], 0x40
	v_div_fmas_f64 v[12:13], v[12:13], v[16:17], v[18:19]
	global_load_dwordx4 v[14:17], v[14:15], off
	v_add_co_u32_e32 v18, vcc, s2, v4
	v_addc_co_u32_e32 v19, vcc, v31, v5, vcc
	global_load_dwordx4 v[18:21], v[18:19], off
	v_div_fixup_f64 v[12:13], v[12:13], v[28:29], 1.0
	v_mul_f64 v[10:11], v[12:13], v[26:27]
	v_mul_f64 v[12:13], v[12:13], v[24:25]
	v_add_co_u32_e32 v26, vcc, s2, v2
	v_addc_co_u32_e32 v27, vcc, v31, v3, vcc
	s_waitcnt vmcnt(1)
	v_mul_f64 v[22:23], v[6:7], v[16:17]
	v_mul_f64 v[28:29], v[6:7], -v[14:15]
	s_waitcnt vmcnt(0)
	v_mul_f64 v[24:25], v[10:11], -v[18:19]
	v_fma_f64 v[14:15], -v[14:15], v[8:9], v[22:23]
	v_mul_f64 v[22:23], v[10:11], v[20:21]
	v_fma_f64 v[16:17], -v[16:17], v[8:9], v[28:29]
	v_fma_f64 v[20:21], -v[20:21], v[12:13], v[24:25]
	;; [unrolled: 1-line block ×3, first 2 shown]
	global_load_dwordx4 v[22:25], v[26:27], off
	s_waitcnt vmcnt(0)
	v_mul_f64 v[26:27], v[6:7], -v[24:25]
	v_mul_f64 v[28:29], v[6:7], v[22:23]
	v_fma_f64 v[26:27], v[22:23], v[8:9], v[26:27]
	v_add_co_u32_e32 v22, vcc, s12, v4
	v_addc_co_u32_e32 v23, vcc, v30, v5, vcc
	v_fma_f64 v[28:29], v[24:25], v[8:9], v[28:29]
	global_load_dwordx4 v[22:25], v[22:23], off
	s_waitcnt vmcnt(0)
	v_mul_f64 v[30:31], v[10:11], -v[24:25]
	v_fma_f64 v[30:31], v[22:23], v[12:13], v[30:31]
	v_mul_f64 v[22:23], v[10:11], v[22:23]
	v_fma_f64 v[32:33], v[24:25], v[12:13], v[22:23]
	v_add_co_u32_e32 v22, vcc, s14, v0
	v_addc_co_u32_e32 v23, vcc, v34, v1, vcc
	global_load_dwordx4 v[22:25], v[22:23], off
	s_waitcnt vmcnt(0)
	v_add_f64 v[22:23], v[22:23], -v[26:27]
	v_add_f64 v[24:25], v[24:25], -v[28:29]
	v_mov_b32_e32 v27, s17
	v_add_co_u32_e32 v26, vcc, s16, v0
	v_addc_co_u32_e32 v27, vcc, v27, v1, vcc
	v_mov_b32_e32 v29, s19
	v_add_f64 v[22:23], v[22:23], -v[30:31]
	v_add_f64 v[24:25], v[24:25], -v[32:33]
	v_add_co_u32_e32 v28, vcc, s18, v0
	v_addc_co_u32_e32 v29, vcc, v29, v1, vcc
	s_waitcnt lgkmcnt(0)
	v_mov_b32_e32 v31, s1
	v_add_co_u32_e32 v30, vcc, s0, v0
	v_addc_co_u32_e32 v31, vcc, v31, v1, vcc
	global_store_dwordx4 v[26:27], v[14:17], off
	global_store_dwordx4 v[28:29], v[22:25], off
	;; [unrolled: 1-line block ×3, first 2 shown]
	s_cbranch_scc1 .LBB96_3
; %bb.1:
	s_load_dwordx2 s[0:1], s[4:5], 0x48
	s_load_dwordx2 s[2:3], s[4:5], 0x28
	s_waitcnt lgkmcnt(0)
	v_mov_b32_e32 v14, s1
	v_add_co_u32_e32 v15, vcc, s0, v0
	s_ashr_i32 s1, s9, 31
	s_mov_b32 s0, s9
	s_lshl_b64 s[4:5], s[0:1], 4
	v_addc_co_u32_e32 v16, vcc, v14, v1, vcc
	s_add_u32 s8, s2, 8
	v_add_co_u32_e32 v14, vcc, 8, v15
	s_addc_u32 s9, s3, 0
	s_ashr_i32 s1, s11, 31
	s_mov_b32 s0, s11
	v_addc_co_u32_e32 v15, vcc, 0, v16, vcc
	s_lshl_b64 s[6:7], s[0:1], 4
.LBB96_2:                               ; =>This Inner Loop Header: Depth=1
	v_mov_b32_e32 v29, s9
	v_add_co_u32_e32 v24, vcc, s8, v2
	v_add_co_u32_e64 v27, s[2:3], s8, v4
	v_addc_co_u32_e32 v25, vcc, v29, v3, vcc
	v_addc_co_u32_e64 v28, s[2:3], v29, v5, s[2:3]
	global_load_dwordx4 v[16:19], v[24:25], off offset:-8
	global_load_dwordx4 v[20:23], v[27:28], off offset:-8
	v_add_co_u32_e64 v26, s[0:1], s8, v0
	v_addc_co_u32_e64 v27, vcc, v29, v1, s[0:1]
	global_load_dwordx4 v[24:27], v[26:27], off offset:-8
	s_add_i32 s10, s10, -1
	s_add_u32 s8, s8, s6
	s_addc_u32 s9, s9, s7
	s_cmp_eq_u32 s10, 0
	s_waitcnt vmcnt(2)
	v_mul_f64 v[28:29], v[6:7], -v[18:19]
	v_mul_f64 v[30:31], v[6:7], v[16:17]
	v_fma_f64 v[16:17], v[16:17], v[8:9], v[28:29]
	v_fma_f64 v[18:19], v[18:19], v[8:9], v[30:31]
	s_waitcnt vmcnt(1)
	v_mul_f64 v[28:29], v[10:11], -v[22:23]
	v_mul_f64 v[30:31], v[10:11], v[20:21]
	s_waitcnt vmcnt(0)
	v_add_f64 v[16:17], v[24:25], -v[16:17]
	v_add_f64 v[18:19], v[26:27], -v[18:19]
	v_fma_f64 v[20:21], v[20:21], v[12:13], v[28:29]
	v_fma_f64 v[22:23], v[22:23], v[12:13], v[30:31]
	v_mov_b32_e32 v24, s5
	v_add_f64 v[16:17], v[16:17], -v[20:21]
	v_add_f64 v[18:19], v[18:19], -v[22:23]
	global_store_dwordx4 v[14:15], v[16:19], off offset:-8
	v_add_co_u32_e32 v14, vcc, s4, v14
	v_addc_co_u32_e32 v15, vcc, v15, v24, vcc
	s_cbranch_scc0 .LBB96_2
.LBB96_3:
	s_endpgm
	.section	.rodata,"a",@progbits
	.p2align	6, 0x0
	.amdhsa_kernel _ZN9rocsparseL35gtsv_nopivot_pcr_pow2_stage1_kernelILj256E21rocsparse_complex_numIdEEEviiiiPKT0_S5_S5_S5_PS3_S6_S6_S6_
		.amdhsa_group_segment_fixed_size 0
		.amdhsa_private_segment_fixed_size 0
		.amdhsa_kernarg_size 80
		.amdhsa_user_sgpr_count 6
		.amdhsa_user_sgpr_private_segment_buffer 1
		.amdhsa_user_sgpr_dispatch_ptr 0
		.amdhsa_user_sgpr_queue_ptr 0
		.amdhsa_user_sgpr_kernarg_segment_ptr 1
		.amdhsa_user_sgpr_dispatch_id 0
		.amdhsa_user_sgpr_flat_scratch_init 0
		.amdhsa_user_sgpr_private_segment_size 0
		.amdhsa_uses_dynamic_stack 0
		.amdhsa_system_sgpr_private_segment_wavefront_offset 0
		.amdhsa_system_sgpr_workgroup_id_x 1
		.amdhsa_system_sgpr_workgroup_id_y 0
		.amdhsa_system_sgpr_workgroup_id_z 0
		.amdhsa_system_sgpr_workgroup_info 0
		.amdhsa_system_vgpr_workitem_id 0
		.amdhsa_next_free_vgpr 35
		.amdhsa_next_free_sgpr 20
		.amdhsa_reserve_vcc 1
		.amdhsa_reserve_flat_scratch 0
		.amdhsa_float_round_mode_32 0
		.amdhsa_float_round_mode_16_64 0
		.amdhsa_float_denorm_mode_32 3
		.amdhsa_float_denorm_mode_16_64 3
		.amdhsa_dx10_clamp 1
		.amdhsa_ieee_mode 1
		.amdhsa_fp16_overflow 0
		.amdhsa_exception_fp_ieee_invalid_op 0
		.amdhsa_exception_fp_denorm_src 0
		.amdhsa_exception_fp_ieee_div_zero 0
		.amdhsa_exception_fp_ieee_overflow 0
		.amdhsa_exception_fp_ieee_underflow 0
		.amdhsa_exception_fp_ieee_inexact 0
		.amdhsa_exception_int_div_zero 0
	.end_amdhsa_kernel
	.section	.text._ZN9rocsparseL35gtsv_nopivot_pcr_pow2_stage1_kernelILj256E21rocsparse_complex_numIdEEEviiiiPKT0_S5_S5_S5_PS3_S6_S6_S6_,"axG",@progbits,_ZN9rocsparseL35gtsv_nopivot_pcr_pow2_stage1_kernelILj256E21rocsparse_complex_numIdEEEviiiiPKT0_S5_S5_S5_PS3_S6_S6_S6_,comdat
.Lfunc_end96:
	.size	_ZN9rocsparseL35gtsv_nopivot_pcr_pow2_stage1_kernelILj256E21rocsparse_complex_numIdEEEviiiiPKT0_S5_S5_S5_PS3_S6_S6_S6_, .Lfunc_end96-_ZN9rocsparseL35gtsv_nopivot_pcr_pow2_stage1_kernelILj256E21rocsparse_complex_numIdEEEviiiiPKT0_S5_S5_S5_PS3_S6_S6_S6_
                                        ; -- End function
	.set _ZN9rocsparseL35gtsv_nopivot_pcr_pow2_stage1_kernelILj256E21rocsparse_complex_numIdEEEviiiiPKT0_S5_S5_S5_PS3_S6_S6_S6_.num_vgpr, 35
	.set _ZN9rocsparseL35gtsv_nopivot_pcr_pow2_stage1_kernelILj256E21rocsparse_complex_numIdEEEviiiiPKT0_S5_S5_S5_PS3_S6_S6_S6_.num_agpr, 0
	.set _ZN9rocsparseL35gtsv_nopivot_pcr_pow2_stage1_kernelILj256E21rocsparse_complex_numIdEEEviiiiPKT0_S5_S5_S5_PS3_S6_S6_S6_.numbered_sgpr, 20
	.set _ZN9rocsparseL35gtsv_nopivot_pcr_pow2_stage1_kernelILj256E21rocsparse_complex_numIdEEEviiiiPKT0_S5_S5_S5_PS3_S6_S6_S6_.num_named_barrier, 0
	.set _ZN9rocsparseL35gtsv_nopivot_pcr_pow2_stage1_kernelILj256E21rocsparse_complex_numIdEEEviiiiPKT0_S5_S5_S5_PS3_S6_S6_S6_.private_seg_size, 0
	.set _ZN9rocsparseL35gtsv_nopivot_pcr_pow2_stage1_kernelILj256E21rocsparse_complex_numIdEEEviiiiPKT0_S5_S5_S5_PS3_S6_S6_S6_.uses_vcc, 1
	.set _ZN9rocsparseL35gtsv_nopivot_pcr_pow2_stage1_kernelILj256E21rocsparse_complex_numIdEEEviiiiPKT0_S5_S5_S5_PS3_S6_S6_S6_.uses_flat_scratch, 0
	.set _ZN9rocsparseL35gtsv_nopivot_pcr_pow2_stage1_kernelILj256E21rocsparse_complex_numIdEEEviiiiPKT0_S5_S5_S5_PS3_S6_S6_S6_.has_dyn_sized_stack, 0
	.set _ZN9rocsparseL35gtsv_nopivot_pcr_pow2_stage1_kernelILj256E21rocsparse_complex_numIdEEEviiiiPKT0_S5_S5_S5_PS3_S6_S6_S6_.has_recursion, 0
	.set _ZN9rocsparseL35gtsv_nopivot_pcr_pow2_stage1_kernelILj256E21rocsparse_complex_numIdEEEviiiiPKT0_S5_S5_S5_PS3_S6_S6_S6_.has_indirect_call, 0
	.section	.AMDGPU.csdata,"",@progbits
; Kernel info:
; codeLenInByte = 1120
; TotalNumSgprs: 24
; NumVgprs: 35
; ScratchSize: 0
; MemoryBound: 0
; FloatMode: 240
; IeeeMode: 1
; LDSByteSize: 0 bytes/workgroup (compile time only)
; SGPRBlocks: 2
; VGPRBlocks: 8
; NumSGPRsForWavesPerEU: 24
; NumVGPRsForWavesPerEU: 35
; Occupancy: 7
; WaveLimiterHint : 0
; COMPUTE_PGM_RSRC2:SCRATCH_EN: 0
; COMPUTE_PGM_RSRC2:USER_SGPR: 6
; COMPUTE_PGM_RSRC2:TRAP_HANDLER: 0
; COMPUTE_PGM_RSRC2:TGID_X_EN: 1
; COMPUTE_PGM_RSRC2:TGID_Y_EN: 0
; COMPUTE_PGM_RSRC2:TGID_Z_EN: 0
; COMPUTE_PGM_RSRC2:TIDIG_COMP_CNT: 0
	.section	.text._ZN9rocsparseL38gtsv_nopivot_thomas_pow2_stage2_kernelILj256ELj512E21rocsparse_complex_numIdEEEviiiiPKT1_S5_S5_S5_PS3_S6_S6_S6_S6_,"axG",@progbits,_ZN9rocsparseL38gtsv_nopivot_thomas_pow2_stage2_kernelILj256ELj512E21rocsparse_complex_numIdEEEviiiiPKT1_S5_S5_S5_PS3_S6_S6_S6_S6_,comdat
	.globl	_ZN9rocsparseL38gtsv_nopivot_thomas_pow2_stage2_kernelILj256ELj512E21rocsparse_complex_numIdEEEviiiiPKT1_S5_S5_S5_PS3_S6_S6_S6_S6_ ; -- Begin function _ZN9rocsparseL38gtsv_nopivot_thomas_pow2_stage2_kernelILj256ELj512E21rocsparse_complex_numIdEEEviiiiPKT1_S5_S5_S5_PS3_S6_S6_S6_S6_
	.p2align	8
	.type	_ZN9rocsparseL38gtsv_nopivot_thomas_pow2_stage2_kernelILj256ELj512E21rocsparse_complex_numIdEEEviiiiPKT1_S5_S5_S5_PS3_S6_S6_S6_S6_,@function
_ZN9rocsparseL38gtsv_nopivot_thomas_pow2_stage2_kernelILj256ELj512E21rocsparse_complex_numIdEEEviiiiPKT1_S5_S5_S5_PS3_S6_S6_S6_S6_: ; @_ZN9rocsparseL38gtsv_nopivot_thomas_pow2_stage2_kernelILj256ELj512E21rocsparse_complex_numIdEEEviiiiPKT1_S5_S5_S5_PS3_S6_S6_S6_S6_
; %bb.0:
	s_load_dwordx2 s[18:19], s[4:5], 0x0
	s_lshl_b32 s6, s6, 8
	v_or_b32_e32 v1, s6, v0
	s_waitcnt lgkmcnt(0)
	v_cmp_gt_i32_e32 vcc, s18, v1
	s_and_saveexec_b64 s[0:1], vcc
	s_cbranch_execz .LBB97_7
; %bb.1:
	s_load_dwordx8 s[8:15], s[4:5], 0x10
	v_ashrrev_i32_e32 v2, 31, v1
	v_lshlrev_b64 v[20:21], 4, v[1:2]
	s_mul_i32 s24, s19, s7
	s_add_i32 s20, s6, s18
	s_waitcnt lgkmcnt(0)
	v_mov_b32_e32 v3, s13
	v_add_co_u32_e32 v2, vcc, s12, v20
	v_addc_co_u32_e32 v3, vcc, v3, v21, vcc
	v_mov_b32_e32 v4, s11
	v_add_co_u32_e32 v12, vcc, s10, v20
	v_addc_co_u32_e32 v13, vcc, v4, v21, vcc
	global_load_dwordx4 v[4:7], v[12:13], off
	global_load_dwordx4 v[8:11], v[2:3], off
	v_add_u32_e32 v2, s24, v1
	v_mov_b32_e32 v3, 0
	v_lshlrev_b64 v[22:23], 4, v[2:3]
	v_mov_b32_e32 v2, s15
	v_add_co_u32_e32 v12, vcc, s14, v22
	v_addc_co_u32_e32 v13, vcc, v2, v23, vcc
	global_load_dwordx4 v[12:15], v[12:13], off
	s_ashr_i32 s19, s18, 31
	s_movk_i32 s25, 0x1ff
	s_mov_b32 s22, 0
	s_waitcnt vmcnt(2)
	v_mul_f64 v[24:25], v[6:7], v[6:7]
	s_waitcnt vmcnt(1)
	v_mul_f64 v[16:17], v[6:7], v[10:11]
	v_mul_f64 v[18:19], v[6:7], -v[8:9]
	v_fma_f64 v[16:17], v[8:9], v[4:5], v[16:17]
	v_fma_f64 v[18:19], v[10:11], v[4:5], v[18:19]
	s_waitcnt vmcnt(0)
	v_mul_f64 v[8:9], v[6:7], v[14:15]
	v_mul_f64 v[6:7], v[6:7], -v[12:13]
	v_fma_f64 v[10:11], v[4:5], v[4:5], v[24:25]
	v_fma_f64 v[24:25], v[12:13], v[4:5], v[8:9]
	;; [unrolled: 1-line block ×3, first 2 shown]
	v_div_scale_f64 v[6:7], s[0:1], v[10:11], v[10:11], 1.0
	s_load_dwordx2 s[16:17], s[4:5], 0x50
	s_load_dwordx4 s[0:3], s[4:5], 0x40
	v_rcp_f64_e32 v[8:9], v[6:7]
	v_fma_f64 v[12:13], -v[6:7], v[8:9], 1.0
	v_fma_f64 v[8:9], v[8:9], v[12:13], v[8:9]
	v_div_scale_f64 v[12:13], vcc, 1.0, v[10:11], 1.0
	v_fma_f64 v[14:15], -v[6:7], v[8:9], 1.0
	v_fma_f64 v[8:9], v[8:9], v[14:15], v[8:9]
	v_mul_f64 v[14:15], v[12:13], v[8:9]
	v_fma_f64 v[6:7], -v[6:7], v[14:15], v[12:13]
	v_div_fmas_f64 v[12:13], v[6:7], v[8:9], v[14:15]
	v_add_u32_e32 v6, s20, v0
	s_lshl_b64 s[20:21], s[18:19], 4
	v_mov_b32_e32 v2, s21
	v_add_u32_e32 v8, s24, v0
	v_add_u32_e32 v7, s24, v6
	;; [unrolled: 1-line block ×3, first 2 shown]
	v_div_fixup_f64 v[26:27], v[12:13], v[10:11], 1.0
	v_add_co_u32_e32 v10, vcc, s20, v20
	v_addc_co_u32_e32 v11, vcc, v2, v21, vcc
	s_waitcnt lgkmcnt(0)
	v_mov_b32_e32 v2, s1
	v_mul_f64 v[12:13], v[26:27], v[16:17]
	v_mul_f64 v[14:15], v[26:27], v[18:19]
	;; [unrolled: 1-line block ×4, first 2 shown]
	v_add_co_u32_e32 v4, vcc, s0, v20
	v_addc_co_u32_e32 v5, vcc, v2, v21, vcc
	v_mov_b32_e32 v24, s3
	v_add_co_u32_e32 v20, vcc, s2, v22
	v_addc_co_u32_e32 v21, vcc, v24, v23, vcc
	global_store_dwordx4 v[4:5], v[12:15], off
	global_store_dwordx4 v[20:21], v[16:19], off
.LBB97_2:                               ; =>This Inner Loop Header: Depth=1
	v_add_u32_e32 v12, s22, v6
	v_add_co_u32_e32 v20, vcc, s10, v10
	v_mov_b32_e32 v2, s11
	s_ashr_i32 s23, s22, 31
	v_ashrrev_i32_e32 v13, 31, v12
	v_addc_co_u32_e32 v21, vcc, v2, v11, vcc
	s_lshl_b64 s[26:27], s[22:23], 4
	v_add_co_u32_e32 v22, vcc, s26, v4
	v_mov_b32_e32 v2, s27
	v_lshlrev_b64 v[12:13], 4, v[12:13]
	v_addc_co_u32_e32 v23, vcc, v5, v2, vcc
	v_add_co_u32_e32 v24, vcc, s8, v12
	v_mov_b32_e32 v2, s9
	v_addc_co_u32_e32 v25, vcc, v2, v13, vcc
	global_load_dwordx4 v[12:15], v[24:25], off
	global_load_dwordx4 v[16:19], v[22:23], off
	v_mov_b32_e32 v2, s13
	s_add_i32 s25, s25, -1
	s_waitcnt vmcnt(0)
	v_mul_f64 v[22:23], v[14:15], -v[18:19]
	v_fma_f64 v[22:23], v[16:17], v[12:13], v[22:23]
	v_mul_f64 v[16:17], v[14:15], v[16:17]
	v_fma_f64 v[24:25], v[18:19], v[12:13], v[16:17]
	global_load_dwordx4 v[16:19], v[20:21], off
	s_waitcnt vmcnt(0)
	v_add_f64 v[18:19], v[18:19], -v[24:25]
	v_add_f64 v[16:17], v[16:17], -v[22:23]
	v_mul_f64 v[20:21], v[18:19], v[18:19]
	v_fma_f64 v[20:21], v[16:17], v[16:17], v[20:21]
	v_div_scale_f64 v[22:23], s[26:27], v[20:21], v[20:21], 1.0
	v_rcp_f64_e32 v[24:25], v[22:23]
	v_fma_f64 v[26:27], -v[22:23], v[24:25], 1.0
	v_fma_f64 v[24:25], v[24:25], v[26:27], v[24:25]
	v_fma_f64 v[26:27], -v[22:23], v[24:25], 1.0
	v_fma_f64 v[24:25], v[24:25], v[26:27], v[24:25]
	v_div_scale_f64 v[26:27], vcc, 1.0, v[20:21], 1.0
	v_mul_f64 v[28:29], v[26:27], v[24:25]
	v_fma_f64 v[22:23], -v[22:23], v[28:29], v[26:27]
	s_nop 1
	v_div_fmas_f64 v[22:23], v[22:23], v[24:25], v[28:29]
	v_div_fixup_f64 v[20:21], v[22:23], v[20:21], 1.0
	v_fma_f64 v[22:23], v[18:19], 0, v[16:17]
	v_fma_f64 v[16:17], v[16:17], 0, -v[18:19]
	v_mul_f64 v[24:25], v[22:23], v[20:21]
	v_mul_f64 v[26:27], v[16:17], v[20:21]
	v_add_co_u32_e32 v16, vcc, s12, v10
	v_addc_co_u32_e32 v17, vcc, v2, v11, vcc
	global_load_dwordx4 v[16:19], v[16:17], off
	v_mov_b32_e32 v2, s1
	s_waitcnt vmcnt(0)
	v_mul_f64 v[20:21], v[26:27], -v[18:19]
	v_fma_f64 v[20:21], v[16:17], v[24:25], v[20:21]
	v_mul_f64 v[16:17], v[16:17], v[26:27]
	v_fma_f64 v[22:23], v[18:19], v[24:25], v[16:17]
	v_add_co_u32_e32 v16, vcc, s0, v10
	v_addc_co_u32_e32 v17, vcc, v2, v11, vcc
	v_add_u32_e32 v2, s22, v7
	global_store_dwordx4 v[16:17], v[20:23], off
	s_nop 0
	v_lshlrev_b64 v[20:21], 4, v[2:3]
	v_mov_b32_e32 v2, s15
	v_add_co_u32_e32 v22, vcc, s14, v20
	v_addc_co_u32_e32 v23, vcc, v2, v21, vcc
	v_add_u32_e32 v2, s22, v9
	v_lshlrev_b64 v[16:17], 4, v[2:3]
	v_mov_b32_e32 v2, s3
	v_add_co_u32_e32 v16, vcc, s2, v16
	v_addc_co_u32_e32 v17, vcc, v2, v17, vcc
	global_load_dwordx4 v[16:19], v[16:17], off
	s_add_i32 s22, s22, s18
	s_cmp_eq_u32 s25, 0
	s_waitcnt vmcnt(0)
	v_mul_f64 v[28:29], v[14:15], -v[18:19]
	v_mul_f64 v[14:15], v[14:15], v[16:17]
	v_fma_f64 v[28:29], v[16:17], v[12:13], v[28:29]
	v_fma_f64 v[16:17], v[18:19], v[12:13], v[14:15]
	global_load_dwordx4 v[12:15], v[22:23], off
	s_waitcnt vmcnt(0)
	v_add_f64 v[18:19], v[12:13], -v[28:29]
	v_add_f64 v[14:15], v[14:15], -v[16:17]
	v_mul_f64 v[16:17], v[26:27], v[18:19]
	v_mul_f64 v[12:13], v[26:27], -v[14:15]
	v_fma_f64 v[14:15], v[14:15], v[24:25], v[16:17]
	v_fma_f64 v[12:13], v[18:19], v[24:25], v[12:13]
	v_add_co_u32_e32 v16, vcc, s2, v20
	v_addc_co_u32_e32 v17, vcc, v2, v21, vcc
	v_add_co_u32_e32 v10, vcc, s20, v10
	v_mov_b32_e32 v2, s21
	v_addc_co_u32_e32 v11, vcc, v11, v2, vcc
	global_store_dwordx4 v[16:17], v[12:15], off
	s_cbranch_scc0 .LBB97_2
; %bb.3:
	s_mul_i32 s0, s18, 0x1ff
	v_add_u32_e32 v3, s0, v1
	v_add_u32_e32 v6, s24, v3
	v_mov_b32_e32 v7, 0
	v_lshlrev_b64 v[1:2], 4, v[6:7]
	v_mov_b32_e32 v6, s3
	v_add_co_u32_e32 v1, vcc, s2, v1
	v_addc_co_u32_e32 v2, vcc, v6, v2, vcc
	global_load_dwordx4 v[17:20], v[1:2], off
	s_load_dword s1, s[4:5], 0xc
	s_mul_i32 s4, s18, 0x1fe
	s_mul_i32 s8, s18, 0x1fc
	;; [unrolled: 1-line block ×4, first 2 shown]
	s_waitcnt lgkmcnt(0)
	s_mul_i32 s1, s1, s7
	v_add_u32_e32 v6, s1, v3
	v_add_u32_e32 v3, s1, v0
	v_lshlrev_b64 v[0:1], 4, v[6:7]
	v_mov_b32_e32 v2, s17
	s_add_i32 s12, s6, s4
	s_add_i32 s13, s6, s8
	;; [unrolled: 1-line block ×5, first 2 shown]
	v_add_co_u32_e32 v0, vcc, s16, v0
	s_lshl_b32 s5, s18, 2
	s_movk_i32 s11, 0xfe04
	v_add_u32_e32 v9, s13, v8
	v_add_u32_e32 v10, s15, v8
	;; [unrolled: 1-line block ×9, first 2 shown]
	v_addc_co_u32_e32 v1, vcc, v2, v1, vcc
	s_mov_b32 s6, 0
	s_waitcnt vmcnt(0)
	global_store_dwordx4 v[0:1], v[17:20], off
	s_branch .LBB97_5
.LBB97_4:                               ;   in Loop: Header=BB97_5 Depth=1
	s_add_i32 s0, s10, s6
	s_ashr_i32 s1, s0, 31
	s_lshl_b64 s[0:1], s[0:1], 4
	v_mov_b32_e32 v6, s1
	v_add_co_u32_e32 v17, vcc, s0, v4
	v_addc_co_u32_e32 v18, vcc, v5, v6, vcc
	global_load_dwordx4 v[17:20], v[17:18], off
	v_add_u32_e32 v6, s6, v10
	v_lshlrev_b64 v[21:22], 4, v[6:7]
	v_mov_b32_e32 v23, s3
	v_add_co_u32_e32 v21, vcc, s2, v21
	v_addc_co_u32_e32 v22, vcc, v23, v22, vcc
	global_load_dwordx4 v[21:24], v[21:22], off
	v_add_u32_e32 v6, s6, v15
	s_add_i32 s11, s11, 4
	s_sub_i32 s6, s6, s5
	s_waitcnt vmcnt(1)
	v_mul_f64 v[25:26], v[2:3], -v[19:20]
	v_mul_f64 v[2:3], v[2:3], v[17:18]
	v_fma_f64 v[17:18], v[17:18], v[0:1], v[25:26]
	v_fma_f64 v[2:3], v[19:20], v[0:1], v[2:3]
	v_mov_b32_e32 v19, s17
	s_waitcnt vmcnt(0)
	v_add_f64 v[0:1], v[21:22], -v[17:18]
	v_add_f64 v[2:3], v[23:24], -v[2:3]
	v_lshlrev_b64 v[17:18], 4, v[6:7]
	v_add_co_u32_e32 v17, vcc, s16, v17
	v_addc_co_u32_e32 v18, vcc, v19, v18, vcc
	global_store_dwordx4 v[17:18], v[0:3], off
	s_cbranch_execz .LBB97_7
.LBB97_5:                               ; =>This Inner Loop Header: Depth=1
	s_add_i32 s0, s4, s6
	s_ashr_i32 s1, s0, 31
	v_add_u32_e32 v6, s6, v8
	s_lshl_b64 s[0:1], s[0:1], 4
	v_lshlrev_b64 v[21:22], 4, v[6:7]
	v_mov_b32_e32 v0, s1
	v_add_co_u32_e32 v23, vcc, s0, v4
	v_add_u32_e32 v6, s6, v16
	v_addc_co_u32_e32 v24, vcc, v5, v0, vcc
	v_lshlrev_b64 v[0:1], 4, v[6:7]
	v_mov_b32_e32 v29, s17
	v_add_co_u32_e32 v25, vcc, s16, v0
	v_addc_co_u32_e32 v26, vcc, v29, v1, vcc
	global_load_dwordx4 v[0:3], v[25:26], off
	global_load_dwordx4 v[17:20], v[23:24], off
	v_mov_b32_e32 v27, s3
	v_add_co_u32_e32 v21, vcc, s2, v21
	v_addc_co_u32_e32 v22, vcc, v27, v22, vcc
	s_add_i32 s0, s9, s6
	s_ashr_i32 s1, s0, 31
	s_lshl_b64 s[0:1], s[0:1], 4
	v_mov_b32_e32 v6, s1
	s_waitcnt vmcnt(0)
	v_mul_f64 v[23:24], v[2:3], -v[19:20]
	v_mul_f64 v[2:3], v[2:3], v[17:18]
	v_fma_f64 v[23:24], v[17:18], v[0:1], v[23:24]
	v_fma_f64 v[25:26], v[19:20], v[0:1], v[2:3]
	global_load_dwordx4 v[0:3], v[21:22], off
	v_add_co_u32_e32 v17, vcc, s0, v4
	v_addc_co_u32_e32 v18, vcc, v5, v6, vcc
	global_load_dwordx4 v[17:20], v[17:18], off
	v_add_u32_e32 v6, s6, v12
	s_add_i32 s0, s8, s6
	s_ashr_i32 s1, s0, 31
	s_lshl_b64 s[0:1], s[0:1], 4
	s_cmp_eq_u32 s11, 0
	s_waitcnt vmcnt(1)
	v_add_f64 v[2:3], v[2:3], -v[25:26]
	v_add_f64 v[0:1], v[0:1], -v[23:24]
	v_lshlrev_b64 v[25:26], 4, v[6:7]
	v_add_u32_e32 v6, s6, v11
	v_add_co_u32_e32 v25, vcc, s16, v25
	v_addc_co_u32_e32 v26, vcc, v29, v26, vcc
	s_waitcnt vmcnt(0)
	v_mul_f64 v[21:22], v[2:3], -v[19:20]
	v_mul_f64 v[23:24], v[2:3], v[17:18]
	global_store_dwordx4 v[25:26], v[0:3], off
	v_fma_f64 v[21:22], v[17:18], v[0:1], v[21:22]
	v_lshlrev_b64 v[17:18], 4, v[6:7]
	v_fma_f64 v[23:24], v[19:20], v[0:1], v[23:24]
	v_add_co_u32_e32 v17, vcc, s2, v17
	v_addc_co_u32_e32 v18, vcc, v27, v18, vcc
	global_load_dwordx4 v[17:20], v[17:18], off
	v_mov_b32_e32 v6, s1
	v_add_co_u32_e32 v0, vcc, s0, v4
	v_addc_co_u32_e32 v1, vcc, v5, v6, vcc
	global_load_dwordx4 v[0:3], v[0:1], off
	v_add_u32_e32 v6, s6, v14
	s_waitcnt vmcnt(1)
	v_add_f64 v[19:20], v[19:20], -v[23:24]
	v_add_f64 v[17:18], v[17:18], -v[21:22]
	v_lshlrev_b64 v[21:22], 4, v[6:7]
	v_add_u32_e32 v6, s6, v9
	v_lshlrev_b64 v[23:24], 4, v[6:7]
	v_add_u32_e32 v6, s6, v13
	v_add_co_u32_e32 v23, vcc, s2, v23
	v_addc_co_u32_e32 v24, vcc, v27, v24, vcc
	s_waitcnt vmcnt(0)
	v_mul_f64 v[25:26], v[19:20], -v[2:3]
	v_mul_f64 v[27:28], v[19:20], v[0:1]
	v_add_co_u32_e32 v21, vcc, s16, v21
	v_addc_co_u32_e32 v22, vcc, v29, v22, vcc
	global_store_dwordx4 v[21:22], v[17:20], off
	v_fma_f64 v[25:26], v[0:1], v[17:18], v[25:26]
	v_fma_f64 v[27:28], v[2:3], v[17:18], v[27:28]
	global_load_dwordx4 v[0:3], v[23:24], off
	v_lshlrev_b64 v[17:18], 4, v[6:7]
	v_add_co_u32_e32 v17, vcc, s16, v17
	v_addc_co_u32_e32 v18, vcc, v29, v18, vcc
	s_waitcnt vmcnt(0)
	v_add_f64 v[0:1], v[0:1], -v[25:26]
	v_add_f64 v[2:3], v[2:3], -v[27:28]
	global_store_dwordx4 v[17:18], v[0:3], off
	s_cbranch_scc0 .LBB97_4
; %bb.6:
                                        ; implicit-def: $sgpr11
                                        ; implicit-def: $sgpr6
.LBB97_7:
	s_endpgm
	.section	.rodata,"a",@progbits
	.p2align	6, 0x0
	.amdhsa_kernel _ZN9rocsparseL38gtsv_nopivot_thomas_pow2_stage2_kernelILj256ELj512E21rocsparse_complex_numIdEEEviiiiPKT1_S5_S5_S5_PS3_S6_S6_S6_S6_
		.amdhsa_group_segment_fixed_size 0
		.amdhsa_private_segment_fixed_size 0
		.amdhsa_kernarg_size 88
		.amdhsa_user_sgpr_count 6
		.amdhsa_user_sgpr_private_segment_buffer 1
		.amdhsa_user_sgpr_dispatch_ptr 0
		.amdhsa_user_sgpr_queue_ptr 0
		.amdhsa_user_sgpr_kernarg_segment_ptr 1
		.amdhsa_user_sgpr_dispatch_id 0
		.amdhsa_user_sgpr_flat_scratch_init 0
		.amdhsa_user_sgpr_private_segment_size 0
		.amdhsa_uses_dynamic_stack 0
		.amdhsa_system_sgpr_private_segment_wavefront_offset 0
		.amdhsa_system_sgpr_workgroup_id_x 1
		.amdhsa_system_sgpr_workgroup_id_y 1
		.amdhsa_system_sgpr_workgroup_id_z 0
		.amdhsa_system_sgpr_workgroup_info 0
		.amdhsa_system_vgpr_workitem_id 0
		.amdhsa_next_free_vgpr 30
		.amdhsa_next_free_sgpr 28
		.amdhsa_reserve_vcc 1
		.amdhsa_reserve_flat_scratch 0
		.amdhsa_float_round_mode_32 0
		.amdhsa_float_round_mode_16_64 0
		.amdhsa_float_denorm_mode_32 3
		.amdhsa_float_denorm_mode_16_64 3
		.amdhsa_dx10_clamp 1
		.amdhsa_ieee_mode 1
		.amdhsa_fp16_overflow 0
		.amdhsa_exception_fp_ieee_invalid_op 0
		.amdhsa_exception_fp_denorm_src 0
		.amdhsa_exception_fp_ieee_div_zero 0
		.amdhsa_exception_fp_ieee_overflow 0
		.amdhsa_exception_fp_ieee_underflow 0
		.amdhsa_exception_fp_ieee_inexact 0
		.amdhsa_exception_int_div_zero 0
	.end_amdhsa_kernel
	.section	.text._ZN9rocsparseL38gtsv_nopivot_thomas_pow2_stage2_kernelILj256ELj512E21rocsparse_complex_numIdEEEviiiiPKT1_S5_S5_S5_PS3_S6_S6_S6_S6_,"axG",@progbits,_ZN9rocsparseL38gtsv_nopivot_thomas_pow2_stage2_kernelILj256ELj512E21rocsparse_complex_numIdEEEviiiiPKT1_S5_S5_S5_PS3_S6_S6_S6_S6_,comdat
.Lfunc_end97:
	.size	_ZN9rocsparseL38gtsv_nopivot_thomas_pow2_stage2_kernelILj256ELj512E21rocsparse_complex_numIdEEEviiiiPKT1_S5_S5_S5_PS3_S6_S6_S6_S6_, .Lfunc_end97-_ZN9rocsparseL38gtsv_nopivot_thomas_pow2_stage2_kernelILj256ELj512E21rocsparse_complex_numIdEEEviiiiPKT1_S5_S5_S5_PS3_S6_S6_S6_S6_
                                        ; -- End function
	.set _ZN9rocsparseL38gtsv_nopivot_thomas_pow2_stage2_kernelILj256ELj512E21rocsparse_complex_numIdEEEviiiiPKT1_S5_S5_S5_PS3_S6_S6_S6_S6_.num_vgpr, 30
	.set _ZN9rocsparseL38gtsv_nopivot_thomas_pow2_stage2_kernelILj256ELj512E21rocsparse_complex_numIdEEEviiiiPKT1_S5_S5_S5_PS3_S6_S6_S6_S6_.num_agpr, 0
	.set _ZN9rocsparseL38gtsv_nopivot_thomas_pow2_stage2_kernelILj256ELj512E21rocsparse_complex_numIdEEEviiiiPKT1_S5_S5_S5_PS3_S6_S6_S6_S6_.numbered_sgpr, 28
	.set _ZN9rocsparseL38gtsv_nopivot_thomas_pow2_stage2_kernelILj256ELj512E21rocsparse_complex_numIdEEEviiiiPKT1_S5_S5_S5_PS3_S6_S6_S6_S6_.num_named_barrier, 0
	.set _ZN9rocsparseL38gtsv_nopivot_thomas_pow2_stage2_kernelILj256ELj512E21rocsparse_complex_numIdEEEviiiiPKT1_S5_S5_S5_PS3_S6_S6_S6_S6_.private_seg_size, 0
	.set _ZN9rocsparseL38gtsv_nopivot_thomas_pow2_stage2_kernelILj256ELj512E21rocsparse_complex_numIdEEEviiiiPKT1_S5_S5_S5_PS3_S6_S6_S6_S6_.uses_vcc, 1
	.set _ZN9rocsparseL38gtsv_nopivot_thomas_pow2_stage2_kernelILj256ELj512E21rocsparse_complex_numIdEEEviiiiPKT1_S5_S5_S5_PS3_S6_S6_S6_S6_.uses_flat_scratch, 0
	.set _ZN9rocsparseL38gtsv_nopivot_thomas_pow2_stage2_kernelILj256ELj512E21rocsparse_complex_numIdEEEviiiiPKT1_S5_S5_S5_PS3_S6_S6_S6_S6_.has_dyn_sized_stack, 0
	.set _ZN9rocsparseL38gtsv_nopivot_thomas_pow2_stage2_kernelILj256ELj512E21rocsparse_complex_numIdEEEviiiiPKT1_S5_S5_S5_PS3_S6_S6_S6_S6_.has_recursion, 0
	.set _ZN9rocsparseL38gtsv_nopivot_thomas_pow2_stage2_kernelILj256ELj512E21rocsparse_complex_numIdEEEviiiiPKT1_S5_S5_S5_PS3_S6_S6_S6_S6_.has_indirect_call, 0
	.section	.AMDGPU.csdata,"",@progbits
; Kernel info:
; codeLenInByte = 1856
; TotalNumSgprs: 32
; NumVgprs: 30
; ScratchSize: 0
; MemoryBound: 0
; FloatMode: 240
; IeeeMode: 1
; LDSByteSize: 0 bytes/workgroup (compile time only)
; SGPRBlocks: 3
; VGPRBlocks: 7
; NumSGPRsForWavesPerEU: 32
; NumVGPRsForWavesPerEU: 30
; Occupancy: 8
; WaveLimiterHint : 0
; COMPUTE_PGM_RSRC2:SCRATCH_EN: 0
; COMPUTE_PGM_RSRC2:USER_SGPR: 6
; COMPUTE_PGM_RSRC2:TRAP_HANDLER: 0
; COMPUTE_PGM_RSRC2:TGID_X_EN: 1
; COMPUTE_PGM_RSRC2:TGID_Y_EN: 1
; COMPUTE_PGM_RSRC2:TGID_Z_EN: 0
; COMPUTE_PGM_RSRC2:TIDIG_COMP_CNT: 0
	.section	.text._ZN9rocsparseL30gtsv_nopivot_pcr_stage1_kernelILj256E21rocsparse_complex_numIdEEEviiiiPKT0_S5_S5_S5_PS3_S6_S6_S6_,"axG",@progbits,_ZN9rocsparseL30gtsv_nopivot_pcr_stage1_kernelILj256E21rocsparse_complex_numIdEEEviiiiPKT0_S5_S5_S5_PS3_S6_S6_S6_,comdat
	.globl	_ZN9rocsparseL30gtsv_nopivot_pcr_stage1_kernelILj256E21rocsparse_complex_numIdEEEviiiiPKT0_S5_S5_S5_PS3_S6_S6_S6_ ; -- Begin function _ZN9rocsparseL30gtsv_nopivot_pcr_stage1_kernelILj256E21rocsparse_complex_numIdEEEviiiiPKT0_S5_S5_S5_PS3_S6_S6_S6_
	.p2align	8
	.type	_ZN9rocsparseL30gtsv_nopivot_pcr_stage1_kernelILj256E21rocsparse_complex_numIdEEEviiiiPKT0_S5_S5_S5_PS3_S6_S6_S6_,@function
_ZN9rocsparseL30gtsv_nopivot_pcr_stage1_kernelILj256E21rocsparse_complex_numIdEEEviiiiPKT0_S5_S5_S5_PS3_S6_S6_S6_: ; @_ZN9rocsparseL30gtsv_nopivot_pcr_stage1_kernelILj256E21rocsparse_complex_numIdEEEviiiiPKT0_S5_S5_S5_PS3_S6_S6_S6_
; %bb.0:
	s_load_dwordx4 s[0:3], s[4:5], 0x0
	v_lshl_or_b32 v4, s6, 8, v0
	s_waitcnt lgkmcnt(0)
	v_cmp_gt_i32_e32 vcc, s1, v4
	s_and_saveexec_b64 s[6:7], vcc
	s_cbranch_execz .LBB98_4
; %bb.1:
	s_load_dwordx4 s[8:11], s[4:5], 0x10
	s_load_dwordx2 s[6:7], s[4:5], 0x20
	v_subrev_u32_e32 v0, s0, v4
	v_max_i32_e32 v2, 0, v0
	v_mov_b32_e32 v3, 0
	v_lshlrev_b64 v[2:3], 4, v[2:3]
	v_ashrrev_i32_e32 v5, 31, v4
	v_lshlrev_b64 v[0:1], 4, v[4:5]
	s_waitcnt lgkmcnt(0)
	v_mov_b32_e32 v6, s11
	v_add_co_u32_e32 v5, vcc, s10, v2
	v_addc_co_u32_e32 v6, vcc, v6, v3, vcc
	global_load_dwordx4 v[6:9], v[5:6], off
	v_mov_b32_e32 v11, s9
	v_add_co_u32_e32 v10, vcc, s8, v0
	v_addc_co_u32_e32 v11, vcc, v11, v1, vcc
	global_load_dwordx4 v[10:13], v[10:11], off
	v_add_u32_e32 v4, s0, v4
	s_add_i32 s0, s1, -1
	v_min_i32_e32 v4, s0, v4
	v_ashrrev_i32_e32 v5, 31, v4
	v_lshlrev_b64 v[4:5], 4, v[4:5]
	v_mov_b32_e32 v14, s7
	v_add_co_u32_e32 v22, vcc, s6, v0
	v_addc_co_u32_e32 v23, vcc, v14, v1, vcc
	v_mov_b32_e32 v15, s11
	v_add_co_u32_e32 v24, vcc, s10, v4
	v_addc_co_u32_e32 v25, vcc, v15, v5, vcc
	global_load_dwordx4 v[14:17], v[24:25], off
	global_load_dwordx4 v[18:21], v[22:23], off
	s_cmp_lt_i32 s2, 1
	s_waitcnt vmcnt(3)
	v_mul_f64 v[22:23], v[8:9], v[8:9]
	s_waitcnt vmcnt(2)
	v_mul_f64 v[24:25], v[8:9], v[12:13]
	v_mul_f64 v[8:9], v[8:9], -v[10:11]
	v_fma_f64 v[22:23], v[6:7], v[6:7], v[22:23]
	v_fma_f64 v[10:11], v[10:11], v[6:7], v[24:25]
	;; [unrolled: 1-line block ×3, first 2 shown]
	v_div_scale_f64 v[8:9], s[12:13], v[22:23], v[22:23], 1.0
	s_waitcnt vmcnt(0)
	v_mul_f64 v[24:25], v[16:17], v[20:21]
	v_mul_f64 v[26:27], v[16:17], -v[18:19]
	v_mul_f64 v[16:17], v[16:17], v[16:17]
	v_fma_f64 v[24:25], v[18:19], v[14:15], v[24:25]
	v_fma_f64 v[26:27], v[20:21], v[14:15], v[26:27]
	v_rcp_f64_e32 v[12:13], v[8:9]
	v_fma_f64 v[28:29], v[14:15], v[14:15], v[16:17]
	v_div_scale_f64 v[16:17], vcc, 1.0, v[22:23], 1.0
	v_fma_f64 v[18:19], -v[8:9], v[12:13], 1.0
	v_fma_f64 v[12:13], v[12:13], v[18:19], v[12:13]
	v_fma_f64 v[14:15], -v[8:9], v[12:13], 1.0
	v_fma_f64 v[12:13], v[12:13], v[14:15], v[12:13]
	v_div_scale_f64 v[14:15], s[12:13], v[28:29], v[28:29], 1.0
	v_mul_f64 v[18:19], v[16:17], v[12:13]
	v_fma_f64 v[8:9], -v[8:9], v[18:19], v[16:17]
	v_rcp_f64_e32 v[16:17], v[14:15]
	v_div_fmas_f64 v[8:9], v[8:9], v[12:13], v[18:19]
	v_div_scale_f64 v[12:13], vcc, 1.0, v[28:29], 1.0
	v_fma_f64 v[20:21], -v[14:15], v[16:17], 1.0
	v_div_fixup_f64 v[8:9], v[8:9], v[22:23], 1.0
	v_fma_f64 v[16:17], v[16:17], v[20:21], v[16:17]
	v_mov_b32_e32 v20, s7
	v_mul_f64 v[6:7], v[8:9], v[6:7]
	v_fma_f64 v[18:19], -v[14:15], v[16:17], 1.0
	v_mul_f64 v[8:9], v[8:9], v[10:11]
	v_fma_f64 v[16:17], v[16:17], v[18:19], v[16:17]
	v_mul_f64 v[18:19], v[12:13], v[16:17]
	v_fma_f64 v[12:13], -v[14:15], v[18:19], v[12:13]
	v_mov_b32_e32 v15, s9
	v_div_fmas_f64 v[12:13], v[12:13], v[16:17], v[18:19]
	v_add_co_u32_e32 v14, vcc, s8, v2
	v_addc_co_u32_e32 v15, vcc, v15, v3, vcc
	global_load_dwordx4 v[14:17], v[14:15], off
	v_add_co_u32_e32 v18, vcc, s6, v4
	v_addc_co_u32_e32 v19, vcc, v20, v5, vcc
	global_load_dwordx4 v[18:21], v[18:19], off
	s_load_dwordx4 s[12:15], s[4:5], 0x30
	s_load_dwordx2 s[16:17], s[4:5], 0x40
	v_div_fixup_f64 v[12:13], v[12:13], v[28:29], 1.0
	v_mul_f64 v[10:11], v[12:13], v[26:27]
	v_mul_f64 v[12:13], v[12:13], v[24:25]
	s_waitcnt lgkmcnt(0)
	v_add_co_u32_e32 v26, vcc, s12, v0
	s_waitcnt vmcnt(1)
	v_mul_f64 v[22:23], v[6:7], v[16:17]
	v_mul_f64 v[28:29], v[6:7], -v[14:15]
	s_waitcnt vmcnt(0)
	v_mul_f64 v[24:25], v[10:11], -v[18:19]
	v_fma_f64 v[14:15], -v[14:15], v[8:9], v[22:23]
	v_mul_f64 v[22:23], v[10:11], v[20:21]
	v_fma_f64 v[16:17], -v[16:17], v[8:9], v[28:29]
	v_fma_f64 v[20:21], -v[20:21], v[12:13], v[24:25]
	;; [unrolled: 1-line block ×3, first 2 shown]
	v_mov_b32_e32 v22, s13
	v_addc_co_u32_e32 v27, vcc, v22, v1, vcc
	v_mov_b32_e32 v23, s7
	v_add_co_u32_e32 v22, vcc, s6, v2
	v_addc_co_u32_e32 v23, vcc, v23, v3, vcc
	global_load_dwordx4 v[22:25], v[22:23], off
	s_nop 0
	global_store_dwordx4 v[26:27], v[14:17], off
	s_waitcnt vmcnt(1)
	v_mul_f64 v[26:27], v[6:7], v[22:23]
	v_mul_f64 v[16:17], v[6:7], -v[24:25]
	v_mov_b32_e32 v15, s9
	v_add_co_u32_e32 v14, vcc, s8, v4
	v_addc_co_u32_e32 v15, vcc, v15, v5, vcc
	v_fma_f64 v[24:25], v[24:25], v[8:9], v[26:27]
	v_fma_f64 v[22:23], v[22:23], v[8:9], v[16:17]
	global_load_dwordx4 v[14:17], v[14:15], off
	s_waitcnt vmcnt(0)
	v_mul_f64 v[26:27], v[10:11], -v[16:17]
	v_fma_f64 v[26:27], v[14:15], v[12:13], v[26:27]
	v_mul_f64 v[14:15], v[10:11], v[14:15]
	v_fma_f64 v[28:29], v[16:17], v[12:13], v[14:15]
	v_mov_b32_e32 v15, s11
	v_add_co_u32_e32 v14, vcc, s10, v0
	v_addc_co_u32_e32 v15, vcc, v15, v1, vcc
	global_load_dwordx4 v[14:17], v[14:15], off
	s_waitcnt vmcnt(0)
	v_add_f64 v[14:15], v[14:15], -v[22:23]
	v_add_f64 v[16:17], v[16:17], -v[24:25]
	v_mov_b32_e32 v23, s17
	v_add_co_u32_e32 v22, vcc, s16, v0
	v_addc_co_u32_e32 v23, vcc, v23, v1, vcc
	global_store_dwordx4 v[22:23], v[18:21], off
	v_add_f64 v[14:15], v[14:15], -v[26:27]
	v_add_f64 v[16:17], v[16:17], -v[28:29]
	v_mov_b32_e32 v19, s15
	v_add_co_u32_e32 v18, vcc, s14, v0
	v_addc_co_u32_e32 v19, vcc, v19, v1, vcc
	global_store_dwordx4 v[18:19], v[14:17], off
	s_cbranch_scc1 .LBB98_4
; %bb.2:
	s_load_dwordx2 s[6:7], s[4:5], 0x48
	s_load_dwordx2 s[8:9], s[4:5], 0x28
	s_ashr_i32 s5, s1, 31
	s_mov_b32 s4, s1
	s_lshl_b64 s[4:5], s[4:5], 4
	s_waitcnt lgkmcnt(0)
	v_mov_b32_e32 v14, s7
	v_add_co_u32_e32 v15, vcc, s6, v0
	v_addc_co_u32_e32 v16, vcc, v14, v1, vcc
	s_add_u32 s8, s8, 8
	v_add_co_u32_e32 v14, vcc, 8, v15
	s_addc_u32 s9, s9, 0
	s_ashr_i32 s1, s3, 31
	s_mov_b32 s0, s3
	v_addc_co_u32_e32 v15, vcc, 0, v16, vcc
	s_lshl_b64 s[6:7], s[0:1], 4
.LBB98_3:                               ; =>This Inner Loop Header: Depth=1
	v_mov_b32_e32 v30, s9
	v_add_co_u32_e32 v24, vcc, s8, v2
	v_add_co_u32_e64 v26, s[0:1], s8, v4
	v_addc_co_u32_e32 v25, vcc, v30, v3, vcc
	v_addc_co_u32_e64 v27, s[0:1], v30, v5, s[0:1]
	global_load_dwordx4 v[16:19], v[24:25], off offset:-8
	global_load_dwordx4 v[20:23], v[26:27], off offset:-8
	s_add_i32 s2, s2, -1
	s_waitcnt vmcnt(1)
	v_mul_f64 v[24:25], v[6:7], -v[18:19]
	v_fma_f64 v[24:25], v[16:17], v[8:9], v[24:25]
	v_mul_f64 v[16:17], v[6:7], v[16:17]
	v_fma_f64 v[26:27], v[18:19], v[8:9], v[16:17]
	s_waitcnt vmcnt(0)
	v_mul_f64 v[16:17], v[10:11], -v[22:23]
	v_fma_f64 v[28:29], v[20:21], v[12:13], v[16:17]
	v_mul_f64 v[16:17], v[10:11], v[20:21]
	v_fma_f64 v[20:21], v[22:23], v[12:13], v[16:17]
	v_add_co_u32_e32 v16, vcc, s8, v0
	v_addc_co_u32_e32 v17, vcc, v30, v1, vcc
	global_load_dwordx4 v[16:19], v[16:17], off offset:-8
	s_add_u32 s8, s8, s6
	v_mov_b32_e32 v22, s5
	s_addc_u32 s9, s9, s7
	s_cmp_lg_u32 s2, 0
	s_waitcnt vmcnt(0)
	v_add_f64 v[16:17], v[16:17], -v[24:25]
	v_add_f64 v[18:19], v[18:19], -v[26:27]
	;; [unrolled: 1-line block ×4, first 2 shown]
	global_store_dwordx4 v[14:15], v[16:19], off offset:-8
	v_add_co_u32_e32 v14, vcc, s4, v14
	v_addc_co_u32_e32 v15, vcc, v15, v22, vcc
	s_cbranch_scc1 .LBB98_3
.LBB98_4:
	s_endpgm
	.section	.rodata,"a",@progbits
	.p2align	6, 0x0
	.amdhsa_kernel _ZN9rocsparseL30gtsv_nopivot_pcr_stage1_kernelILj256E21rocsparse_complex_numIdEEEviiiiPKT0_S5_S5_S5_PS3_S6_S6_S6_
		.amdhsa_group_segment_fixed_size 0
		.amdhsa_private_segment_fixed_size 0
		.amdhsa_kernarg_size 80
		.amdhsa_user_sgpr_count 6
		.amdhsa_user_sgpr_private_segment_buffer 1
		.amdhsa_user_sgpr_dispatch_ptr 0
		.amdhsa_user_sgpr_queue_ptr 0
		.amdhsa_user_sgpr_kernarg_segment_ptr 1
		.amdhsa_user_sgpr_dispatch_id 0
		.amdhsa_user_sgpr_flat_scratch_init 0
		.amdhsa_user_sgpr_private_segment_size 0
		.amdhsa_uses_dynamic_stack 0
		.amdhsa_system_sgpr_private_segment_wavefront_offset 0
		.amdhsa_system_sgpr_workgroup_id_x 1
		.amdhsa_system_sgpr_workgroup_id_y 0
		.amdhsa_system_sgpr_workgroup_id_z 0
		.amdhsa_system_sgpr_workgroup_info 0
		.amdhsa_system_vgpr_workitem_id 0
		.amdhsa_next_free_vgpr 31
		.amdhsa_next_free_sgpr 18
		.amdhsa_reserve_vcc 1
		.amdhsa_reserve_flat_scratch 0
		.amdhsa_float_round_mode_32 0
		.amdhsa_float_round_mode_16_64 0
		.amdhsa_float_denorm_mode_32 3
		.amdhsa_float_denorm_mode_16_64 3
		.amdhsa_dx10_clamp 1
		.amdhsa_ieee_mode 1
		.amdhsa_fp16_overflow 0
		.amdhsa_exception_fp_ieee_invalid_op 0
		.amdhsa_exception_fp_denorm_src 0
		.amdhsa_exception_fp_ieee_div_zero 0
		.amdhsa_exception_fp_ieee_overflow 0
		.amdhsa_exception_fp_ieee_underflow 0
		.amdhsa_exception_fp_ieee_inexact 0
		.amdhsa_exception_int_div_zero 0
	.end_amdhsa_kernel
	.section	.text._ZN9rocsparseL30gtsv_nopivot_pcr_stage1_kernelILj256E21rocsparse_complex_numIdEEEviiiiPKT0_S5_S5_S5_PS3_S6_S6_S6_,"axG",@progbits,_ZN9rocsparseL30gtsv_nopivot_pcr_stage1_kernelILj256E21rocsparse_complex_numIdEEEviiiiPKT0_S5_S5_S5_PS3_S6_S6_S6_,comdat
.Lfunc_end98:
	.size	_ZN9rocsparseL30gtsv_nopivot_pcr_stage1_kernelILj256E21rocsparse_complex_numIdEEEviiiiPKT0_S5_S5_S5_PS3_S6_S6_S6_, .Lfunc_end98-_ZN9rocsparseL30gtsv_nopivot_pcr_stage1_kernelILj256E21rocsparse_complex_numIdEEEviiiiPKT0_S5_S5_S5_PS3_S6_S6_S6_
                                        ; -- End function
	.set _ZN9rocsparseL30gtsv_nopivot_pcr_stage1_kernelILj256E21rocsparse_complex_numIdEEEviiiiPKT0_S5_S5_S5_PS3_S6_S6_S6_.num_vgpr, 31
	.set _ZN9rocsparseL30gtsv_nopivot_pcr_stage1_kernelILj256E21rocsparse_complex_numIdEEEviiiiPKT0_S5_S5_S5_PS3_S6_S6_S6_.num_agpr, 0
	.set _ZN9rocsparseL30gtsv_nopivot_pcr_stage1_kernelILj256E21rocsparse_complex_numIdEEEviiiiPKT0_S5_S5_S5_PS3_S6_S6_S6_.numbered_sgpr, 18
	.set _ZN9rocsparseL30gtsv_nopivot_pcr_stage1_kernelILj256E21rocsparse_complex_numIdEEEviiiiPKT0_S5_S5_S5_PS3_S6_S6_S6_.num_named_barrier, 0
	.set _ZN9rocsparseL30gtsv_nopivot_pcr_stage1_kernelILj256E21rocsparse_complex_numIdEEEviiiiPKT0_S5_S5_S5_PS3_S6_S6_S6_.private_seg_size, 0
	.set _ZN9rocsparseL30gtsv_nopivot_pcr_stage1_kernelILj256E21rocsparse_complex_numIdEEEviiiiPKT0_S5_S5_S5_PS3_S6_S6_S6_.uses_vcc, 1
	.set _ZN9rocsparseL30gtsv_nopivot_pcr_stage1_kernelILj256E21rocsparse_complex_numIdEEEviiiiPKT0_S5_S5_S5_PS3_S6_S6_S6_.uses_flat_scratch, 0
	.set _ZN9rocsparseL30gtsv_nopivot_pcr_stage1_kernelILj256E21rocsparse_complex_numIdEEEviiiiPKT0_S5_S5_S5_PS3_S6_S6_S6_.has_dyn_sized_stack, 0
	.set _ZN9rocsparseL30gtsv_nopivot_pcr_stage1_kernelILj256E21rocsparse_complex_numIdEEEviiiiPKT0_S5_S5_S5_PS3_S6_S6_S6_.has_recursion, 0
	.set _ZN9rocsparseL30gtsv_nopivot_pcr_stage1_kernelILj256E21rocsparse_complex_numIdEEEviiiiPKT0_S5_S5_S5_PS3_S6_S6_S6_.has_indirect_call, 0
	.section	.AMDGPU.csdata,"",@progbits
; Kernel info:
; codeLenInByte = 1152
; TotalNumSgprs: 22
; NumVgprs: 31
; ScratchSize: 0
; MemoryBound: 0
; FloatMode: 240
; IeeeMode: 1
; LDSByteSize: 0 bytes/workgroup (compile time only)
; SGPRBlocks: 2
; VGPRBlocks: 7
; NumSGPRsForWavesPerEU: 22
; NumVGPRsForWavesPerEU: 31
; Occupancy: 8
; WaveLimiterHint : 0
; COMPUTE_PGM_RSRC2:SCRATCH_EN: 0
; COMPUTE_PGM_RSRC2:USER_SGPR: 6
; COMPUTE_PGM_RSRC2:TRAP_HANDLER: 0
; COMPUTE_PGM_RSRC2:TGID_X_EN: 1
; COMPUTE_PGM_RSRC2:TGID_Y_EN: 0
; COMPUTE_PGM_RSRC2:TGID_Z_EN: 0
; COMPUTE_PGM_RSRC2:TIDIG_COMP_CNT: 0
	.section	.text._ZN9rocsparseL33gtsv_nopivot_thomas_stage2_kernelILj256E21rocsparse_complex_numIdEEEviiiiPKT0_S5_S5_S5_PS3_S6_S6_S6_S6_,"axG",@progbits,_ZN9rocsparseL33gtsv_nopivot_thomas_stage2_kernelILj256E21rocsparse_complex_numIdEEEviiiiPKT0_S5_S5_S5_PS3_S6_S6_S6_S6_,comdat
	.globl	_ZN9rocsparseL33gtsv_nopivot_thomas_stage2_kernelILj256E21rocsparse_complex_numIdEEEviiiiPKT0_S5_S5_S5_PS3_S6_S6_S6_S6_ ; -- Begin function _ZN9rocsparseL33gtsv_nopivot_thomas_stage2_kernelILj256E21rocsparse_complex_numIdEEEviiiiPKT0_S5_S5_S5_PS3_S6_S6_S6_S6_
	.p2align	8
	.type	_ZN9rocsparseL33gtsv_nopivot_thomas_stage2_kernelILj256E21rocsparse_complex_numIdEEEviiiiPKT0_S5_S5_S5_PS3_S6_S6_S6_S6_,@function
_ZN9rocsparseL33gtsv_nopivot_thomas_stage2_kernelILj256E21rocsparse_complex_numIdEEEviiiiPKT0_S5_S5_S5_PS3_S6_S6_S6_S6_: ; @_ZN9rocsparseL33gtsv_nopivot_thomas_stage2_kernelILj256E21rocsparse_complex_numIdEEEviiiiPKT0_S5_S5_S5_PS3_S6_S6_S6_S6_
; %bb.0:
	s_load_dwordx2 s[12:13], s[4:5], 0x0
	s_lshl_b32 s6, s6, 8
	v_or_b32_e32 v5, s6, v0
	s_waitcnt lgkmcnt(0)
	v_cmp_gt_i32_e32 vcc, s12, v5
	s_and_saveexec_b64 s[0:1], vcc
	s_cbranch_execz .LBB99_7
; %bb.1:
	s_load_dwordx4 s[0:3], s[4:5], 0x18
	s_load_dwordx2 s[14:15], s[4:5], 0x28
	v_ashrrev_i32_e32 v6, 31, v5
	v_lshlrev_b64 v[6:7], 4, v[5:6]
	s_mul_i32 s22, s13, s7
	s_waitcnt lgkmcnt(0)
	v_mov_b32_e32 v1, s1
	v_add_co_u32_e32 v8, vcc, s0, v6
	v_addc_co_u32_e32 v9, vcc, v1, v7, vcc
	global_load_dwordx4 v[1:4], v[8:9], off
	v_mov_b32_e32 v11, 0
	v_add_u32_e32 v10, s22, v5
	v_lshlrev_b64 v[22:23], 4, v[10:11]
	v_mov_b32_e32 v10, s15
	s_load_dwordx4 s[8:11], s[4:5], 0x40
	s_abs_i32 s16, s12
	s_sub_i32 s17, 0, s16
	s_waitcnt vmcnt(0)
	v_mul_f64 v[12:13], v[3:4], v[3:4]
	v_fma_f64 v[24:25], v[1:2], v[1:2], v[12:13]
	v_add_co_u32_e32 v12, vcc, s14, v22
	v_addc_co_u32_e32 v13, vcc, v10, v23, vcc
	global_load_dwordx4 v[14:17], v[12:13], off
	v_mov_b32_e32 v10, s3
	v_add_co_u32_e32 v12, vcc, s2, v6
	v_div_scale_f64 v[26:27], s[0:1], v[24:25], v[24:25], 1.0
	v_addc_co_u32_e32 v13, vcc, v10, v7, vcc
	global_load_dwordx4 v[18:21], v[12:13], off
	s_load_dwordx2 s[2:3], s[4:5], 0x50
	s_waitcnt lgkmcnt(0)
	v_add_co_u32_e64 v22, s[0:1], s10, v22
	v_cvt_f32_u32_e32 v10, s16
	v_mov_b32_e32 v34, s9
	v_rcp_iflag_f32_e32 v10, v10
	v_rcp_f64_e32 v[28:29], v[26:27]
	v_mul_f32_e32 v10, 0x4f7ffffe, v10
	v_cvt_u32_f32_e32 v10, v10
	v_fma_f64 v[30:31], -v[26:27], v[28:29], 1.0
	v_fma_f64 v[28:29], v[28:29], v[30:31], v[28:29]
	v_div_scale_f64 v[30:31], vcc, 1.0, v[24:25], 1.0
	v_fma_f64 v[32:33], -v[26:27], v[28:29], 1.0
	v_fma_f64 v[28:29], v[28:29], v[32:33], v[28:29]
	v_mov_b32_e32 v32, s11
	v_addc_co_u32_e64 v23, s[0:1], v32, v23, s[0:1]
	v_add_co_u32_e64 v6, s[0:1], s8, v6
	v_addc_co_u32_e64 v7, s[0:1], v34, v7, s[0:1]
	v_mul_f64 v[32:33], v[30:31], v[28:29]
	v_mul_lo_u32 v34, s17, v10
	v_fma_f64 v[26:27], -v[26:27], v[32:33], v[30:31]
	s_waitcnt vmcnt(1)
	v_mul_f64 v[30:31], v[3:4], v[16:17]
	v_div_fmas_f64 v[26:27], v[26:27], v[28:29], v[32:33]
	v_mul_f64 v[28:29], v[3:4], -v[14:15]
	v_mul_hi_u32 v32, v10, v34
	v_xad_u32 v33, v5, -1, s13
	v_fma_f64 v[30:31], v[14:15], v[1:2], v[30:31]
	v_sub_u32_e32 v34, 0, v33
	v_max_i32_e32 v34, v33, v34
	v_add_u32_e32 v10, v10, v32
	v_mul_hi_u32 v10, v34, v10
	v_fma_f64 v[15:16], v[16:17], v[1:2], v[28:29]
	s_waitcnt vmcnt(0)
	v_mul_f64 v[28:29], v[3:4], v[20:21]
	v_mul_f64 v[3:4], v[3:4], -v[18:19]
	v_mul_lo_u32 v17, v10, s16
	v_add_u32_e32 v32, 1, v10
	v_xor_b32_e32 v14, s12, v33
	v_ashrrev_i32_e32 v14, 31, v14
	v_div_fixup_f64 v[24:25], v[26:27], v[24:25], 1.0
	s_mov_b32 s13, 0
	v_fma_f64 v[26:27], v[18:19], v[1:2], v[28:29]
	v_fma_f64 v[3:4], v[20:21], v[1:2], v[3:4]
	v_sub_u32_e32 v21, v34, v17
	v_cmp_le_u32_e32 vcc, s16, v21
	v_subrev_u32_e32 v28, s16, v21
	v_cndmask_b32_e32 v10, v10, v32, vcc
	v_mul_f64 v[17:18], v[24:25], v[30:31]
	v_mul_f64 v[19:20], v[24:25], v[15:16]
	;; [unrolled: 1-line block ×4, first 2 shown]
	v_cndmask_b32_e32 v15, v21, v28, vcc
	v_add_u32_e32 v16, 1, v10
	v_cmp_le_u32_e32 vcc, s16, v15
	v_cndmask_b32_e32 v10, v10, v16, vcc
	v_xor_b32_e32 v15, v10, v14
	v_sub_u32_e32 v16, v15, v14
	v_cmp_lt_i32_e32 vcc, 0, v16
	global_store_dwordx4 v[22:23], v[17:20], off
	global_store_dwordx4 v[6:7], v[1:4], off
	s_and_saveexec_b64 s[0:1], vcc
	s_cbranch_execz .LBB99_4
; %bb.2:
	s_load_dwordx2 s[8:9], s[4:5], 0x10
	s_add_i32 s16, s6, s22
	v_add_u32_e32 v17, s16, v0
	v_add_u32_e32 v18, s12, v5
	;; [unrolled: 1-line block ×3, first 2 shown]
	s_mov_b64 s[16:17], 0
	v_mov_b32_e32 v20, v16
.LBB99_3:                               ; =>This Inner Loop Header: Depth=1
	v_add_u32_e32 v21, s13, v18
	v_ashrrev_i32_e32 v22, 31, v21
	v_lshlrev_b64 v[21:22], 4, v[21:22]
	s_waitcnt lgkmcnt(0)
	v_mov_b32_e32 v23, s9
	v_add_co_u32_e32 v21, vcc, s8, v21
	v_addc_co_u32_e32 v22, vcc, v23, v22, vcc
	global_load_dwordx4 v[21:24], v[21:22], off
	v_add_u32_e32 v10, s13, v19
	v_lshlrev_b64 v[29:30], 4, v[10:11]
	v_add_u32_e32 v10, s13, v17
	v_mov_b32_e32 v37, s11
	s_add_i32 s20, s12, s13
	s_ashr_i32 s21, s20, 31
	s_lshl_b64 s[18:19], s[20:21], 4
	v_add_u32_e32 v20, -1, v20
	s_mov_b32 s13, s20
	s_waitcnt vmcnt(0)
	v_mul_f64 v[25:26], v[23:24], -v[3:4]
	v_mul_f64 v[27:28], v[23:24], v[1:2]
	v_fma_f64 v[25:26], v[1:2], v[21:22], v[25:26]
	v_lshlrev_b64 v[1:2], 4, v[10:11]
	v_fma_f64 v[27:28], v[3:4], v[21:22], v[27:28]
	v_add_co_u32_e32 v1, vcc, s10, v1
	v_addc_co_u32_e32 v2, vcc, v37, v2, vcc
	global_load_dwordx4 v[1:4], v[1:2], off
	v_mov_b32_e32 v10, s19
	s_waitcnt vmcnt(0)
	v_mul_f64 v[31:32], v[23:24], -v[3:4]
	v_fma_f64 v[31:32], v[1:2], v[21:22], v[31:32]
	v_mul_f64 v[1:2], v[23:24], v[1:2]
	v_fma_f64 v[33:34], v[3:4], v[21:22], v[1:2]
	v_add_co_u32_e32 v1, vcc, s18, v8
	v_addc_co_u32_e32 v2, vcc, v9, v10, vcc
	global_load_dwordx4 v[1:4], v[1:2], off
	s_waitcnt vmcnt(0)
	v_add_f64 v[3:4], v[3:4], -v[27:28]
	v_add_f64 v[1:2], v[1:2], -v[25:26]
	v_mul_f64 v[21:22], v[3:4], v[3:4]
	v_fma_f64 v[21:22], v[1:2], v[1:2], v[21:22]
	v_div_scale_f64 v[23:24], s[24:25], v[21:22], v[21:22], 1.0
	v_rcp_f64_e32 v[25:26], v[23:24]
	v_fma_f64 v[27:28], -v[23:24], v[25:26], 1.0
	v_fma_f64 v[25:26], v[25:26], v[27:28], v[25:26]
	v_fma_f64 v[27:28], -v[23:24], v[25:26], 1.0
	v_fma_f64 v[25:26], v[25:26], v[27:28], v[25:26]
	v_div_scale_f64 v[27:28], vcc, 1.0, v[21:22], 1.0
	v_mul_f64 v[35:36], v[27:28], v[25:26]
	v_fma_f64 v[23:24], -v[23:24], v[35:36], v[27:28]
	s_nop 1
	v_div_fmas_f64 v[23:24], v[23:24], v[25:26], v[35:36]
	v_fma_f64 v[25:26], v[3:4], 0, v[1:2]
	v_fma_f64 v[1:2], v[1:2], 0, -v[3:4]
	v_div_fixup_f64 v[3:4], v[23:24], v[21:22], 1.0
	v_mul_f64 v[27:28], v[1:2], v[3:4]
	v_add_co_u32_e32 v1, vcc, s18, v12
	v_addc_co_u32_e32 v2, vcc, v13, v10, vcc
	v_mul_f64 v[25:26], v[25:26], v[3:4]
	global_load_dwordx4 v[1:4], v[1:2], off
	s_waitcnt vmcnt(0)
	v_mul_f64 v[21:22], v[27:28], -v[3:4]
	v_mul_f64 v[23:24], v[1:2], v[27:28]
	v_fma_f64 v[1:2], v[1:2], v[25:26], v[21:22]
	v_mov_b32_e32 v22, s15
	v_add_co_u32_e32 v21, vcc, s14, v29
	v_addc_co_u32_e32 v22, vcc, v22, v30, vcc
	v_fma_f64 v[3:4], v[3:4], v[25:26], v[23:24]
	global_load_dwordx4 v[21:24], v[21:22], off
	s_waitcnt vmcnt(0)
	v_add_f64 v[23:24], v[23:24], -v[33:34]
	v_add_f64 v[21:22], v[21:22], -v[31:32]
	v_mul_f64 v[31:32], v[27:28], -v[23:24]
	v_mul_f64 v[27:28], v[27:28], v[21:22]
	v_fma_f64 v[21:22], v[21:22], v[25:26], v[31:32]
	v_fma_f64 v[23:24], v[23:24], v[25:26], v[27:28]
	v_add_co_u32_e32 v25, vcc, s10, v29
	v_addc_co_u32_e32 v26, vcc, v37, v30, vcc
	v_cmp_eq_u32_e32 vcc, 0, v20
	s_or_b64 s[16:17], vcc, s[16:17]
	v_add_co_u32_e32 v27, vcc, s18, v6
	v_addc_co_u32_e32 v28, vcc, v7, v10, vcc
	global_store_dwordx4 v[27:28], v[1:4], off
	global_store_dwordx4 v[25:26], v[21:24], off
	s_andn2_b64 exec, exec, s[16:17]
	s_cbranch_execnz .LBB99_3
.LBB99_4:
	s_or_b64 exec, exec, s[0:1]
	v_mul_lo_u32 v8, v16, s12
	v_mov_b32_e32 v2, 0
	v_mov_b32_e32 v9, s11
	s_load_dword s0, s[4:5], 0xc
	v_add_u32_e32 v5, v8, v5
	v_add_u32_e32 v1, s22, v5
	v_lshlrev_b64 v[3:4], 4, v[1:2]
	v_mov_b32_e32 v13, s3
	v_add_co_u32_e32 v3, vcc, s10, v3
	v_addc_co_u32_e32 v4, vcc, v9, v4, vcc
	global_load_dwordx4 v[9:12], v[3:4], off
	s_waitcnt lgkmcnt(0)
	s_mul_i32 s0, s0, s7
	v_add_u32_e32 v1, s0, v5
	v_lshlrev_b64 v[3:4], 4, v[1:2]
	v_add_co_u32_e32 v3, vcc, s2, v3
	v_addc_co_u32_e32 v4, vcc, v13, v4, vcc
	v_cmp_lt_i32_e32 vcc, 0, v16
	s_waitcnt vmcnt(0)
	global_store_dwordx4 v[3:4], v[9:12], off
	s_and_b64 exec, exec, vcc
	s_cbranch_execz .LBB99_7
; %bb.5:
	v_sub_u32_e32 v1, v15, v14
	v_add_u32_e32 v5, 1, v1
	v_xad_u32 v1, v14, -1, v15
	v_mul_lo_u32 v3, s12, v1
	s_add_i32 s1, s6, s22
	s_add_i32 s6, s6, s0
	v_add_u32_e32 v9, s1, v0
	v_add_u32_e32 v0, s6, v0
	s_mov_b64 s[0:1], 0
	v_mov_b32_e32 v10, s11
	v_mov_b32_e32 v11, s3
.LBB99_6:                               ; =>This Inner Loop Header: Depth=1
	v_ashrrev_i32_e32 v4, 31, v3
	v_add_u32_e32 v1, v9, v3
	v_lshlrev_b64 v[12:13], 4, v[3:4]
	v_lshlrev_b64 v[20:21], 4, v[1:2]
	v_add_u32_e32 v1, v0, v8
	v_lshlrev_b64 v[14:15], 4, v[1:2]
	v_add_co_u32_e32 v22, vcc, v6, v12
	v_addc_co_u32_e32 v23, vcc, v7, v13, vcc
	v_add_co_u32_e32 v24, vcc, s2, v14
	v_addc_co_u32_e32 v25, vcc, v11, v15, vcc
	global_load_dwordx4 v[12:15], v[22:23], off
	global_load_dwordx4 v[16:19], v[24:25], off
	v_add_co_u32_e32 v20, vcc, s10, v20
	v_addc_co_u32_e32 v21, vcc, v10, v21, vcc
	global_load_dwordx4 v[20:23], v[20:21], off
	v_add_u32_e32 v1, v0, v3
	v_add_u32_e32 v5, -1, v5
	v_cmp_gt_u32_e32 vcc, 2, v5
	s_or_b64 s[0:1], vcc, s[0:1]
	v_subrev_u32_e32 v8, s12, v8
	v_subrev_u32_e32 v3, s12, v3
	s_waitcnt vmcnt(1)
	v_mul_f64 v[24:25], v[18:19], -v[14:15]
	v_mul_f64 v[18:19], v[18:19], v[12:13]
	v_fma_f64 v[12:13], v[12:13], v[16:17], v[24:25]
	v_fma_f64 v[14:15], v[14:15], v[16:17], v[18:19]
	v_lshlrev_b64 v[16:17], 4, v[1:2]
	v_add_co_u32_e32 v16, vcc, s2, v16
	v_addc_co_u32_e32 v17, vcc, v11, v17, vcc
	s_waitcnt vmcnt(0)
	v_add_f64 v[12:13], v[20:21], -v[12:13]
	v_add_f64 v[14:15], v[22:23], -v[14:15]
	global_store_dwordx4 v[16:17], v[12:15], off
	s_andn2_b64 exec, exec, s[0:1]
	s_cbranch_execnz .LBB99_6
.LBB99_7:
	s_endpgm
	.section	.rodata,"a",@progbits
	.p2align	6, 0x0
	.amdhsa_kernel _ZN9rocsparseL33gtsv_nopivot_thomas_stage2_kernelILj256E21rocsparse_complex_numIdEEEviiiiPKT0_S5_S5_S5_PS3_S6_S6_S6_S6_
		.amdhsa_group_segment_fixed_size 0
		.amdhsa_private_segment_fixed_size 0
		.amdhsa_kernarg_size 88
		.amdhsa_user_sgpr_count 6
		.amdhsa_user_sgpr_private_segment_buffer 1
		.amdhsa_user_sgpr_dispatch_ptr 0
		.amdhsa_user_sgpr_queue_ptr 0
		.amdhsa_user_sgpr_kernarg_segment_ptr 1
		.amdhsa_user_sgpr_dispatch_id 0
		.amdhsa_user_sgpr_flat_scratch_init 0
		.amdhsa_user_sgpr_private_segment_size 0
		.amdhsa_uses_dynamic_stack 0
		.amdhsa_system_sgpr_private_segment_wavefront_offset 0
		.amdhsa_system_sgpr_workgroup_id_x 1
		.amdhsa_system_sgpr_workgroup_id_y 1
		.amdhsa_system_sgpr_workgroup_id_z 0
		.amdhsa_system_sgpr_workgroup_info 0
		.amdhsa_system_vgpr_workitem_id 0
		.amdhsa_next_free_vgpr 38
		.amdhsa_next_free_sgpr 26
		.amdhsa_reserve_vcc 1
		.amdhsa_reserve_flat_scratch 0
		.amdhsa_float_round_mode_32 0
		.amdhsa_float_round_mode_16_64 0
		.amdhsa_float_denorm_mode_32 3
		.amdhsa_float_denorm_mode_16_64 3
		.amdhsa_dx10_clamp 1
		.amdhsa_ieee_mode 1
		.amdhsa_fp16_overflow 0
		.amdhsa_exception_fp_ieee_invalid_op 0
		.amdhsa_exception_fp_denorm_src 0
		.amdhsa_exception_fp_ieee_div_zero 0
		.amdhsa_exception_fp_ieee_overflow 0
		.amdhsa_exception_fp_ieee_underflow 0
		.amdhsa_exception_fp_ieee_inexact 0
		.amdhsa_exception_int_div_zero 0
	.end_amdhsa_kernel
	.section	.text._ZN9rocsparseL33gtsv_nopivot_thomas_stage2_kernelILj256E21rocsparse_complex_numIdEEEviiiiPKT0_S5_S5_S5_PS3_S6_S6_S6_S6_,"axG",@progbits,_ZN9rocsparseL33gtsv_nopivot_thomas_stage2_kernelILj256E21rocsparse_complex_numIdEEEviiiiPKT0_S5_S5_S5_PS3_S6_S6_S6_S6_,comdat
.Lfunc_end99:
	.size	_ZN9rocsparseL33gtsv_nopivot_thomas_stage2_kernelILj256E21rocsparse_complex_numIdEEEviiiiPKT0_S5_S5_S5_PS3_S6_S6_S6_S6_, .Lfunc_end99-_ZN9rocsparseL33gtsv_nopivot_thomas_stage2_kernelILj256E21rocsparse_complex_numIdEEEviiiiPKT0_S5_S5_S5_PS3_S6_S6_S6_S6_
                                        ; -- End function
	.set _ZN9rocsparseL33gtsv_nopivot_thomas_stage2_kernelILj256E21rocsparse_complex_numIdEEEviiiiPKT0_S5_S5_S5_PS3_S6_S6_S6_S6_.num_vgpr, 38
	.set _ZN9rocsparseL33gtsv_nopivot_thomas_stage2_kernelILj256E21rocsparse_complex_numIdEEEviiiiPKT0_S5_S5_S5_PS3_S6_S6_S6_S6_.num_agpr, 0
	.set _ZN9rocsparseL33gtsv_nopivot_thomas_stage2_kernelILj256E21rocsparse_complex_numIdEEEviiiiPKT0_S5_S5_S5_PS3_S6_S6_S6_S6_.numbered_sgpr, 26
	.set _ZN9rocsparseL33gtsv_nopivot_thomas_stage2_kernelILj256E21rocsparse_complex_numIdEEEviiiiPKT0_S5_S5_S5_PS3_S6_S6_S6_S6_.num_named_barrier, 0
	.set _ZN9rocsparseL33gtsv_nopivot_thomas_stage2_kernelILj256E21rocsparse_complex_numIdEEEviiiiPKT0_S5_S5_S5_PS3_S6_S6_S6_S6_.private_seg_size, 0
	.set _ZN9rocsparseL33gtsv_nopivot_thomas_stage2_kernelILj256E21rocsparse_complex_numIdEEEviiiiPKT0_S5_S5_S5_PS3_S6_S6_S6_S6_.uses_vcc, 1
	.set _ZN9rocsparseL33gtsv_nopivot_thomas_stage2_kernelILj256E21rocsparse_complex_numIdEEEviiiiPKT0_S5_S5_S5_PS3_S6_S6_S6_S6_.uses_flat_scratch, 0
	.set _ZN9rocsparseL33gtsv_nopivot_thomas_stage2_kernelILj256E21rocsparse_complex_numIdEEEviiiiPKT0_S5_S5_S5_PS3_S6_S6_S6_S6_.has_dyn_sized_stack, 0
	.set _ZN9rocsparseL33gtsv_nopivot_thomas_stage2_kernelILj256E21rocsparse_complex_numIdEEEviiiiPKT0_S5_S5_S5_PS3_S6_S6_S6_S6_.has_recursion, 0
	.set _ZN9rocsparseL33gtsv_nopivot_thomas_stage2_kernelILj256E21rocsparse_complex_numIdEEEviiiiPKT0_S5_S5_S5_PS3_S6_S6_S6_S6_.has_indirect_call, 0
	.section	.AMDGPU.csdata,"",@progbits
; Kernel info:
; codeLenInByte = 1500
; TotalNumSgprs: 30
; NumVgprs: 38
; ScratchSize: 0
; MemoryBound: 0
; FloatMode: 240
; IeeeMode: 1
; LDSByteSize: 0 bytes/workgroup (compile time only)
; SGPRBlocks: 3
; VGPRBlocks: 9
; NumSGPRsForWavesPerEU: 30
; NumVGPRsForWavesPerEU: 38
; Occupancy: 6
; WaveLimiterHint : 0
; COMPUTE_PGM_RSRC2:SCRATCH_EN: 0
; COMPUTE_PGM_RSRC2:USER_SGPR: 6
; COMPUTE_PGM_RSRC2:TRAP_HANDLER: 0
; COMPUTE_PGM_RSRC2:TGID_X_EN: 1
; COMPUTE_PGM_RSRC2:TGID_Y_EN: 1
; COMPUTE_PGM_RSRC2:TGID_Z_EN: 0
; COMPUTE_PGM_RSRC2:TIDIG_COMP_CNT: 0
	.section	.AMDGPU.gpr_maximums,"",@progbits
	.set amdgpu.max_num_vgpr, 0
	.set amdgpu.max_num_agpr, 0
	.set amdgpu.max_num_sgpr, 0
	.section	.AMDGPU.csdata,"",@progbits
	.type	__hip_cuid_50841e6dfc6fcd83,@object ; @__hip_cuid_50841e6dfc6fcd83
	.section	.bss,"aw",@nobits
	.globl	__hip_cuid_50841e6dfc6fcd83
__hip_cuid_50841e6dfc6fcd83:
	.byte	0                               ; 0x0
	.size	__hip_cuid_50841e6dfc6fcd83, 1

	.ident	"AMD clang version 22.0.0git (https://github.com/RadeonOpenCompute/llvm-project roc-7.2.4 26084 f58b06dce1f9c15707c5f808fd002e18c2accf7e)"
	.section	".note.GNU-stack","",@progbits
	.addrsig
	.addrsig_sym __hip_cuid_50841e6dfc6fcd83
	.amdgpu_metadata
---
amdhsa.kernels:
  - .args:
      - .offset:         0
        .size:           4
        .value_kind:     by_value
      - .offset:         4
        .size:           4
        .value_kind:     by_value
      - .offset:         8
        .size:           4
        .value_kind:     by_value
      - .actual_access:  read_only
        .address_space:  global
        .offset:         16
        .size:           8
        .value_kind:     global_buffer
      - .actual_access:  read_only
        .address_space:  global
        .offset:         24
        .size:           8
        .value_kind:     global_buffer
      - .actual_access:  read_only
        .address_space:  global
        .offset:         32
        .size:           8
        .value_kind:     global_buffer
      - .address_space:  global
        .offset:         40
        .size:           8
        .value_kind:     global_buffer
    .group_segment_fixed_size: 76
    .kernarg_segment_align: 8
    .kernarg_segment_size: 48
    .language:       OpenCL C
    .language_version:
      - 2
      - 0
    .max_flat_workgroup_size: 2
    .name:           _ZN9rocsparseL35gtsv_nopivot_pcr_pow2_shared_kernelILj2EfEEviiiPKT0_S3_S3_PS1_
    .private_segment_fixed_size: 0
    .sgpr_count:     20
    .sgpr_spill_count: 0
    .symbol:         _ZN9rocsparseL35gtsv_nopivot_pcr_pow2_shared_kernelILj2EfEEviiiPKT0_S3_S3_PS1_.kd
    .uniform_work_group_size: 1
    .uses_dynamic_stack: false
    .vgpr_count:     16
    .vgpr_spill_count: 0
    .wavefront_size: 64
  - .args:
      - .offset:         0
        .size:           4
        .value_kind:     by_value
      - .offset:         4
        .size:           4
        .value_kind:     by_value
      - .offset:         8
        .size:           4
        .value_kind:     by_value
      - .actual_access:  read_only
        .address_space:  global
        .offset:         16
        .size:           8
        .value_kind:     global_buffer
      - .actual_access:  read_only
        .address_space:  global
        .offset:         24
        .size:           8
        .value_kind:     global_buffer
      - .actual_access:  read_only
        .address_space:  global
        .offset:         32
        .size:           8
        .value_kind:     global_buffer
      - .address_space:  global
        .offset:         40
        .size:           8
        .value_kind:     global_buffer
    .group_segment_fixed_size: 148
    .kernarg_segment_align: 8
    .kernarg_segment_size: 48
    .language:       OpenCL C
    .language_version:
      - 2
      - 0
    .max_flat_workgroup_size: 4
    .name:           _ZN9rocsparseL35gtsv_nopivot_pcr_pow2_shared_kernelILj4EfEEviiiPKT0_S3_S3_PS1_
    .private_segment_fixed_size: 0
    .sgpr_count:     20
    .sgpr_spill_count: 0
    .symbol:         _ZN9rocsparseL35gtsv_nopivot_pcr_pow2_shared_kernelILj4EfEEviiiPKT0_S3_S3_PS1_.kd
    .uniform_work_group_size: 1
    .uses_dynamic_stack: false
    .vgpr_count:     23
    .vgpr_spill_count: 0
    .wavefront_size: 64
  - .args:
      - .offset:         0
        .size:           4
        .value_kind:     by_value
      - .offset:         4
        .size:           4
        .value_kind:     by_value
      - .offset:         8
        .size:           4
        .value_kind:     by_value
      - .actual_access:  read_only
        .address_space:  global
        .offset:         16
        .size:           8
        .value_kind:     global_buffer
      - .actual_access:  read_only
        .address_space:  global
        .offset:         24
        .size:           8
        .value_kind:     global_buffer
      - .actual_access:  read_only
        .address_space:  global
        .offset:         32
        .size:           8
        .value_kind:     global_buffer
      - .address_space:  global
        .offset:         40
        .size:           8
        .value_kind:     global_buffer
    .group_segment_fixed_size: 228
    .kernarg_segment_align: 8
    .kernarg_segment_size: 48
    .language:       OpenCL C
    .language_version:
      - 2
      - 0
    .max_flat_workgroup_size: 8
    .name:           _ZN9rocsparseL35gtsv_nopivot_pcr_pow2_shared_kernelILj8EfEEviiiPKT0_S3_S3_PS1_
    .private_segment_fixed_size: 0
    .sgpr_count:     20
    .sgpr_spill_count: 0
    .symbol:         _ZN9rocsparseL35gtsv_nopivot_pcr_pow2_shared_kernelILj8EfEEviiiPKT0_S3_S3_PS1_.kd
    .uniform_work_group_size: 1
    .uses_dynamic_stack: false
    .vgpr_count:     23
    .vgpr_spill_count: 0
    .wavefront_size: 64
  - .args:
      - .offset:         0
        .size:           4
        .value_kind:     by_value
      - .offset:         4
        .size:           4
        .value_kind:     by_value
      - .offset:         8
        .size:           4
        .value_kind:     by_value
      - .actual_access:  read_only
        .address_space:  global
        .offset:         16
        .size:           8
        .value_kind:     global_buffer
      - .actual_access:  read_only
        .address_space:  global
        .offset:         24
        .size:           8
        .value_kind:     global_buffer
      - .actual_access:  read_only
        .address_space:  global
        .offset:         32
        .size:           8
        .value_kind:     global_buffer
      - .address_space:  global
        .offset:         40
        .size:           8
        .value_kind:     global_buffer
    .group_segment_fixed_size: 388
    .kernarg_segment_align: 8
    .kernarg_segment_size: 48
    .language:       OpenCL C
    .language_version:
      - 2
      - 0
    .max_flat_workgroup_size: 16
    .name:           _ZN9rocsparseL35gtsv_nopivot_pcr_pow2_shared_kernelILj16EfEEviiiPKT0_S3_S3_PS1_
    .private_segment_fixed_size: 0
    .sgpr_count:     20
    .sgpr_spill_count: 0
    .symbol:         _ZN9rocsparseL35gtsv_nopivot_pcr_pow2_shared_kernelILj16EfEEviiiPKT0_S3_S3_PS1_.kd
    .uniform_work_group_size: 1
    .uses_dynamic_stack: false
    .vgpr_count:     23
    .vgpr_spill_count: 0
    .wavefront_size: 64
  - .args:
      - .offset:         0
        .size:           4
        .value_kind:     by_value
      - .offset:         4
        .size:           4
        .value_kind:     by_value
      - .offset:         8
        .size:           4
        .value_kind:     by_value
      - .actual_access:  read_only
        .address_space:  global
        .offset:         16
        .size:           8
        .value_kind:     global_buffer
      - .actual_access:  read_only
        .address_space:  global
        .offset:         24
        .size:           8
        .value_kind:     global_buffer
      - .actual_access:  read_only
        .address_space:  global
        .offset:         32
        .size:           8
        .value_kind:     global_buffer
      - .address_space:  global
        .offset:         40
        .size:           8
        .value_kind:     global_buffer
    .group_segment_fixed_size: 708
    .kernarg_segment_align: 8
    .kernarg_segment_size: 48
    .language:       OpenCL C
    .language_version:
      - 2
      - 0
    .max_flat_workgroup_size: 32
    .name:           _ZN9rocsparseL35gtsv_nopivot_pcr_pow2_shared_kernelILj32EfEEviiiPKT0_S3_S3_PS1_
    .private_segment_fixed_size: 0
    .sgpr_count:     20
    .sgpr_spill_count: 0
    .symbol:         _ZN9rocsparseL35gtsv_nopivot_pcr_pow2_shared_kernelILj32EfEEviiiPKT0_S3_S3_PS1_.kd
    .uniform_work_group_size: 1
    .uses_dynamic_stack: false
    .vgpr_count:     23
    .vgpr_spill_count: 0
    .wavefront_size: 64
  - .args:
      - .offset:         0
        .size:           4
        .value_kind:     by_value
      - .offset:         4
        .size:           4
        .value_kind:     by_value
      - .offset:         8
        .size:           4
        .value_kind:     by_value
      - .actual_access:  read_only
        .address_space:  global
        .offset:         16
        .size:           8
        .value_kind:     global_buffer
      - .actual_access:  read_only
        .address_space:  global
        .offset:         24
        .size:           8
        .value_kind:     global_buffer
      - .actual_access:  read_only
        .address_space:  global
        .offset:         32
        .size:           8
        .value_kind:     global_buffer
      - .address_space:  global
        .offset:         40
        .size:           8
        .value_kind:     global_buffer
    .group_segment_fixed_size: 1348
    .kernarg_segment_align: 8
    .kernarg_segment_size: 48
    .language:       OpenCL C
    .language_version:
      - 2
      - 0
    .max_flat_workgroup_size: 64
    .name:           _ZN9rocsparseL35gtsv_nopivot_pcr_pow2_shared_kernelILj64EfEEviiiPKT0_S3_S3_PS1_
    .private_segment_fixed_size: 0
    .sgpr_count:     20
    .sgpr_spill_count: 0
    .symbol:         _ZN9rocsparseL35gtsv_nopivot_pcr_pow2_shared_kernelILj64EfEEviiiPKT0_S3_S3_PS1_.kd
    .uniform_work_group_size: 1
    .uses_dynamic_stack: false
    .vgpr_count:     21
    .vgpr_spill_count: 0
    .wavefront_size: 64
  - .args:
      - .offset:         0
        .size:           4
        .value_kind:     by_value
      - .offset:         4
        .size:           4
        .value_kind:     by_value
      - .offset:         8
        .size:           4
        .value_kind:     by_value
      - .actual_access:  read_only
        .address_space:  global
        .offset:         16
        .size:           8
        .value_kind:     global_buffer
      - .actual_access:  read_only
        .address_space:  global
        .offset:         24
        .size:           8
        .value_kind:     global_buffer
      - .actual_access:  read_only
        .address_space:  global
        .offset:         32
        .size:           8
        .value_kind:     global_buffer
      - .address_space:  global
        .offset:         40
        .size:           8
        .value_kind:     global_buffer
    .group_segment_fixed_size: 3840
    .kernarg_segment_align: 8
    .kernarg_segment_size: 48
    .language:       OpenCL C
    .language_version:
      - 2
      - 0
    .max_flat_workgroup_size: 64
    .name:           _ZN9rocsparseL37gtsv_nopivot_crpcr_pow2_shared_kernelILj64ELj64EfEEviiiPKT1_S3_S3_PS1_
    .private_segment_fixed_size: 0
    .sgpr_count:     20
    .sgpr_spill_count: 0
    .symbol:         _ZN9rocsparseL37gtsv_nopivot_crpcr_pow2_shared_kernelILj64ELj64EfEEviiiPKT1_S3_S3_PS1_.kd
    .uniform_work_group_size: 1
    .uses_dynamic_stack: false
    .vgpr_count:     34
    .vgpr_spill_count: 0
    .wavefront_size: 64
  - .args:
      - .offset:         0
        .size:           4
        .value_kind:     by_value
      - .offset:         4
        .size:           4
        .value_kind:     by_value
      - .offset:         8
        .size:           4
        .value_kind:     by_value
      - .actual_access:  read_only
        .address_space:  global
        .offset:         16
        .size:           8
        .value_kind:     global_buffer
      - .actual_access:  read_only
        .address_space:  global
        .offset:         24
        .size:           8
        .value_kind:     global_buffer
      - .actual_access:  read_only
        .address_space:  global
        .offset:         32
        .size:           8
        .value_kind:     global_buffer
      - .address_space:  global
        .offset:         40
        .size:           8
        .value_kind:     global_buffer
    .group_segment_fixed_size: 6400
    .kernarg_segment_align: 8
    .kernarg_segment_size: 48
    .language:       OpenCL C
    .language_version:
      - 2
      - 0
    .max_flat_workgroup_size: 128
    .name:           _ZN9rocsparseL37gtsv_nopivot_crpcr_pow2_shared_kernelILj128ELj64EfEEviiiPKT1_S3_S3_PS1_
    .private_segment_fixed_size: 0
    .sgpr_count:     20
    .sgpr_spill_count: 0
    .symbol:         _ZN9rocsparseL37gtsv_nopivot_crpcr_pow2_shared_kernelILj128ELj64EfEEviiiPKT1_S3_S3_PS1_.kd
    .uniform_work_group_size: 1
    .uses_dynamic_stack: false
    .vgpr_count:     31
    .vgpr_spill_count: 0
    .wavefront_size: 64
  - .args:
      - .offset:         0
        .size:           4
        .value_kind:     by_value
      - .offset:         4
        .size:           4
        .value_kind:     by_value
      - .offset:         8
        .size:           4
        .value_kind:     by_value
      - .actual_access:  read_only
        .address_space:  global
        .offset:         16
        .size:           8
        .value_kind:     global_buffer
      - .actual_access:  read_only
        .address_space:  global
        .offset:         24
        .size:           8
        .value_kind:     global_buffer
      - .actual_access:  read_only
        .address_space:  global
        .offset:         32
        .size:           8
        .value_kind:     global_buffer
      - .address_space:  global
        .offset:         40
        .size:           8
        .value_kind:     global_buffer
    .group_segment_fixed_size: 11520
    .kernarg_segment_align: 8
    .kernarg_segment_size: 48
    .language:       OpenCL C
    .language_version:
      - 2
      - 0
    .max_flat_workgroup_size: 256
    .name:           _ZN9rocsparseL37gtsv_nopivot_crpcr_pow2_shared_kernelILj256ELj64EfEEviiiPKT1_S3_S3_PS1_
    .private_segment_fixed_size: 0
    .sgpr_count:     20
    .sgpr_spill_count: 0
    .symbol:         _ZN9rocsparseL37gtsv_nopivot_crpcr_pow2_shared_kernelILj256ELj64EfEEviiiPKT1_S3_S3_PS1_.kd
    .uniform_work_group_size: 1
    .uses_dynamic_stack: false
    .vgpr_count:     31
    .vgpr_spill_count: 0
    .wavefront_size: 64
  - .args:
      - .offset:         0
        .size:           4
        .value_kind:     by_value
      - .offset:         4
        .size:           4
        .value_kind:     by_value
      - .offset:         8
        .size:           4
        .value_kind:     by_value
      - .actual_access:  read_only
        .address_space:  global
        .offset:         16
        .size:           8
        .value_kind:     global_buffer
      - .actual_access:  read_only
        .address_space:  global
        .offset:         24
        .size:           8
        .value_kind:     global_buffer
      - .actual_access:  read_only
        .address_space:  global
        .offset:         32
        .size:           8
        .value_kind:     global_buffer
      - .address_space:  global
        .offset:         40
        .size:           8
        .value_kind:     global_buffer
    .group_segment_fixed_size: 80
    .kernarg_segment_align: 8
    .kernarg_segment_size: 48
    .language:       OpenCL C
    .language_version:
      - 2
      - 0
    .max_flat_workgroup_size: 4
    .name:           _ZN9rocsparseL30gtsv_nopivot_pcr_shared_kernelILj4EfEEviiiPKT0_S3_S3_PS1_
    .private_segment_fixed_size: 0
    .sgpr_count:     16
    .sgpr_spill_count: 0
    .symbol:         _ZN9rocsparseL30gtsv_nopivot_pcr_shared_kernelILj4EfEEviiiPKT0_S3_S3_PS1_.kd
    .uniform_work_group_size: 1
    .uses_dynamic_stack: false
    .vgpr_count:     21
    .vgpr_spill_count: 0
    .wavefront_size: 64
  - .args:
      - .offset:         0
        .size:           4
        .value_kind:     by_value
      - .offset:         4
        .size:           4
        .value_kind:     by_value
      - .offset:         8
        .size:           4
        .value_kind:     by_value
      - .actual_access:  read_only
        .address_space:  global
        .offset:         16
        .size:           8
        .value_kind:     global_buffer
      - .actual_access:  read_only
        .address_space:  global
        .offset:         24
        .size:           8
        .value_kind:     global_buffer
      - .actual_access:  read_only
        .address_space:  global
        .offset:         32
        .size:           8
        .value_kind:     global_buffer
      - .address_space:  global
        .offset:         40
        .size:           8
        .value_kind:     global_buffer
    .group_segment_fixed_size: 160
    .kernarg_segment_align: 8
    .kernarg_segment_size: 48
    .language:       OpenCL C
    .language_version:
      - 2
      - 0
    .max_flat_workgroup_size: 8
    .name:           _ZN9rocsparseL30gtsv_nopivot_pcr_shared_kernelILj8EfEEviiiPKT0_S3_S3_PS1_
    .private_segment_fixed_size: 0
    .sgpr_count:     16
    .sgpr_spill_count: 0
    .symbol:         _ZN9rocsparseL30gtsv_nopivot_pcr_shared_kernelILj8EfEEviiiPKT0_S3_S3_PS1_.kd
    .uniform_work_group_size: 1
    .uses_dynamic_stack: false
    .vgpr_count:     21
    .vgpr_spill_count: 0
    .wavefront_size: 64
  - .args:
      - .offset:         0
        .size:           4
        .value_kind:     by_value
      - .offset:         4
        .size:           4
        .value_kind:     by_value
      - .offset:         8
        .size:           4
        .value_kind:     by_value
      - .actual_access:  read_only
        .address_space:  global
        .offset:         16
        .size:           8
        .value_kind:     global_buffer
      - .actual_access:  read_only
        .address_space:  global
        .offset:         24
        .size:           8
        .value_kind:     global_buffer
      - .actual_access:  read_only
        .address_space:  global
        .offset:         32
        .size:           8
        .value_kind:     global_buffer
      - .address_space:  global
        .offset:         40
        .size:           8
        .value_kind:     global_buffer
    .group_segment_fixed_size: 320
    .kernarg_segment_align: 8
    .kernarg_segment_size: 48
    .language:       OpenCL C
    .language_version:
      - 2
      - 0
    .max_flat_workgroup_size: 16
    .name:           _ZN9rocsparseL30gtsv_nopivot_pcr_shared_kernelILj16EfEEviiiPKT0_S3_S3_PS1_
    .private_segment_fixed_size: 0
    .sgpr_count:     16
    .sgpr_spill_count: 0
    .symbol:         _ZN9rocsparseL30gtsv_nopivot_pcr_shared_kernelILj16EfEEviiiPKT0_S3_S3_PS1_.kd
    .uniform_work_group_size: 1
    .uses_dynamic_stack: false
    .vgpr_count:     21
    .vgpr_spill_count: 0
    .wavefront_size: 64
  - .args:
      - .offset:         0
        .size:           4
        .value_kind:     by_value
      - .offset:         4
        .size:           4
        .value_kind:     by_value
      - .offset:         8
        .size:           4
        .value_kind:     by_value
      - .actual_access:  read_only
        .address_space:  global
        .offset:         16
        .size:           8
        .value_kind:     global_buffer
      - .actual_access:  read_only
        .address_space:  global
        .offset:         24
        .size:           8
        .value_kind:     global_buffer
      - .actual_access:  read_only
        .address_space:  global
        .offset:         32
        .size:           8
        .value_kind:     global_buffer
      - .address_space:  global
        .offset:         40
        .size:           8
        .value_kind:     global_buffer
    .group_segment_fixed_size: 640
    .kernarg_segment_align: 8
    .kernarg_segment_size: 48
    .language:       OpenCL C
    .language_version:
      - 2
      - 0
    .max_flat_workgroup_size: 32
    .name:           _ZN9rocsparseL30gtsv_nopivot_pcr_shared_kernelILj32EfEEviiiPKT0_S3_S3_PS1_
    .private_segment_fixed_size: 0
    .sgpr_count:     16
    .sgpr_spill_count: 0
    .symbol:         _ZN9rocsparseL30gtsv_nopivot_pcr_shared_kernelILj32EfEEviiiPKT0_S3_S3_PS1_.kd
    .uniform_work_group_size: 1
    .uses_dynamic_stack: false
    .vgpr_count:     21
    .vgpr_spill_count: 0
    .wavefront_size: 64
  - .args:
      - .offset:         0
        .size:           4
        .value_kind:     by_value
      - .offset:         4
        .size:           4
        .value_kind:     by_value
      - .offset:         8
        .size:           4
        .value_kind:     by_value
      - .actual_access:  read_only
        .address_space:  global
        .offset:         16
        .size:           8
        .value_kind:     global_buffer
      - .actual_access:  read_only
        .address_space:  global
        .offset:         24
        .size:           8
        .value_kind:     global_buffer
      - .actual_access:  read_only
        .address_space:  global
        .offset:         32
        .size:           8
        .value_kind:     global_buffer
      - .address_space:  global
        .offset:         40
        .size:           8
        .value_kind:     global_buffer
    .group_segment_fixed_size: 1280
    .kernarg_segment_align: 8
    .kernarg_segment_size: 48
    .language:       OpenCL C
    .language_version:
      - 2
      - 0
    .max_flat_workgroup_size: 64
    .name:           _ZN9rocsparseL30gtsv_nopivot_pcr_shared_kernelILj64EfEEviiiPKT0_S3_S3_PS1_
    .private_segment_fixed_size: 0
    .sgpr_count:     16
    .sgpr_spill_count: 0
    .symbol:         _ZN9rocsparseL30gtsv_nopivot_pcr_shared_kernelILj64EfEEviiiPKT0_S3_S3_PS1_.kd
    .uniform_work_group_size: 1
    .uses_dynamic_stack: false
    .vgpr_count:     21
    .vgpr_spill_count: 0
    .wavefront_size: 64
  - .args:
      - .offset:         0
        .size:           4
        .value_kind:     by_value
      - .offset:         4
        .size:           4
        .value_kind:     by_value
      - .offset:         8
        .size:           4
        .value_kind:     by_value
      - .actual_access:  read_only
        .address_space:  global
        .offset:         16
        .size:           8
        .value_kind:     global_buffer
      - .actual_access:  read_only
        .address_space:  global
        .offset:         24
        .size:           8
        .value_kind:     global_buffer
      - .actual_access:  read_only
        .address_space:  global
        .offset:         32
        .size:           8
        .value_kind:     global_buffer
      - .address_space:  global
        .offset:         40
        .size:           8
        .value_kind:     global_buffer
    .group_segment_fixed_size: 2560
    .kernarg_segment_align: 8
    .kernarg_segment_size: 48
    .language:       OpenCL C
    .language_version:
      - 2
      - 0
    .max_flat_workgroup_size: 128
    .name:           _ZN9rocsparseL30gtsv_nopivot_pcr_shared_kernelILj128EfEEviiiPKT0_S3_S3_PS1_
    .private_segment_fixed_size: 0
    .sgpr_count:     16
    .sgpr_spill_count: 0
    .symbol:         _ZN9rocsparseL30gtsv_nopivot_pcr_shared_kernelILj128EfEEviiiPKT0_S3_S3_PS1_.kd
    .uniform_work_group_size: 1
    .uses_dynamic_stack: false
    .vgpr_count:     23
    .vgpr_spill_count: 0
    .wavefront_size: 64
  - .args:
      - .offset:         0
        .size:           4
        .value_kind:     by_value
      - .offset:         4
        .size:           4
        .value_kind:     by_value
      - .offset:         8
        .size:           4
        .value_kind:     by_value
      - .actual_access:  read_only
        .address_space:  global
        .offset:         16
        .size:           8
        .value_kind:     global_buffer
      - .actual_access:  read_only
        .address_space:  global
        .offset:         24
        .size:           8
        .value_kind:     global_buffer
      - .actual_access:  read_only
        .address_space:  global
        .offset:         32
        .size:           8
        .value_kind:     global_buffer
      - .address_space:  global
        .offset:         40
        .size:           8
        .value_kind:     global_buffer
    .group_segment_fixed_size: 5120
    .kernarg_segment_align: 8
    .kernarg_segment_size: 48
    .language:       OpenCL C
    .language_version:
      - 2
      - 0
    .max_flat_workgroup_size: 256
    .name:           _ZN9rocsparseL30gtsv_nopivot_pcr_shared_kernelILj256EfEEviiiPKT0_S3_S3_PS1_
    .private_segment_fixed_size: 0
    .sgpr_count:     16
    .sgpr_spill_count: 0
    .symbol:         _ZN9rocsparseL30gtsv_nopivot_pcr_shared_kernelILj256EfEEviiiPKT0_S3_S3_PS1_.kd
    .uniform_work_group_size: 1
    .uses_dynamic_stack: false
    .vgpr_count:     21
    .vgpr_spill_count: 0
    .wavefront_size: 64
  - .args:
      - .offset:         0
        .size:           4
        .value_kind:     by_value
      - .offset:         4
        .size:           4
        .value_kind:     by_value
      - .offset:         8
        .size:           4
        .value_kind:     by_value
      - .actual_access:  read_only
        .address_space:  global
        .offset:         16
        .size:           8
        .value_kind:     global_buffer
      - .actual_access:  read_only
        .address_space:  global
        .offset:         24
        .size:           8
        .value_kind:     global_buffer
      - .actual_access:  read_only
        .address_space:  global
        .offset:         32
        .size:           8
        .value_kind:     global_buffer
      - .address_space:  global
        .offset:         40
        .size:           8
        .value_kind:     global_buffer
    .group_segment_fixed_size: 10240
    .kernarg_segment_align: 8
    .kernarg_segment_size: 48
    .language:       OpenCL C
    .language_version:
      - 2
      - 0
    .max_flat_workgroup_size: 512
    .name:           _ZN9rocsparseL30gtsv_nopivot_pcr_shared_kernelILj512EfEEviiiPKT0_S3_S3_PS1_
    .private_segment_fixed_size: 0
    .sgpr_count:     16
    .sgpr_spill_count: 0
    .symbol:         _ZN9rocsparseL30gtsv_nopivot_pcr_shared_kernelILj512EfEEviiiPKT0_S3_S3_PS1_.kd
    .uniform_work_group_size: 1
    .uses_dynamic_stack: false
    .vgpr_count:     21
    .vgpr_spill_count: 0
    .wavefront_size: 64
  - .args:
      - .offset:         0
        .size:           4
        .value_kind:     by_value
      - .offset:         4
        .size:           4
        .value_kind:     by_value
      - .offset:         8
        .size:           4
        .value_kind:     by_value
      - .offset:         12
        .size:           4
        .value_kind:     by_value
      - .actual_access:  read_only
        .address_space:  global
        .offset:         16
        .size:           8
        .value_kind:     global_buffer
      - .actual_access:  read_only
        .address_space:  global
        .offset:         24
        .size:           8
        .value_kind:     global_buffer
      - .actual_access:  read_only
        .address_space:  global
        .offset:         32
        .size:           8
        .value_kind:     global_buffer
      - .actual_access:  read_only
        .address_space:  global
        .offset:         40
        .size:           8
        .value_kind:     global_buffer
      - .actual_access:  write_only
        .address_space:  global
        .offset:         48
        .size:           8
        .value_kind:     global_buffer
      - .actual_access:  write_only
        .address_space:  global
        .offset:         56
        .size:           8
        .value_kind:     global_buffer
      - .actual_access:  write_only
        .address_space:  global
        .offset:         64
        .size:           8
        .value_kind:     global_buffer
      - .actual_access:  write_only
        .address_space:  global
        .offset:         72
        .size:           8
        .value_kind:     global_buffer
    .group_segment_fixed_size: 0
    .kernarg_segment_align: 8
    .kernarg_segment_size: 80
    .language:       OpenCL C
    .language_version:
      - 2
      - 0
    .max_flat_workgroup_size: 256
    .name:           _ZN9rocsparseL37gtsv_nopivot_pcr_pow2_stage1_n_kernelILj256EfEEviiiiPKT0_S3_S3_S3_PS1_S4_S4_S4_
    .private_segment_fixed_size: 0
    .sgpr_count:     29
    .sgpr_spill_count: 0
    .symbol:         _ZN9rocsparseL37gtsv_nopivot_pcr_pow2_stage1_n_kernelILj256EfEEviiiiPKT0_S3_S3_S3_PS1_S4_S4_S4_.kd
    .uniform_work_group_size: 1
    .uses_dynamic_stack: false
    .vgpr_count:     21
    .vgpr_spill_count: 0
    .wavefront_size: 64
  - .args:
      - .offset:         0
        .size:           4
        .value_kind:     by_value
      - .offset:         4
        .size:           4
        .value_kind:     by_value
      - .offset:         8
        .size:           4
        .value_kind:     by_value
      - .actual_access:  read_only
        .address_space:  global
        .offset:         16
        .size:           8
        .value_kind:     global_buffer
      - .actual_access:  read_only
        .address_space:  global
        .offset:         24
        .size:           8
        .value_kind:     global_buffer
      - .actual_access:  read_only
        .address_space:  global
        .offset:         32
        .size:           8
        .value_kind:     global_buffer
      - .actual_access:  read_only
        .address_space:  global
        .offset:         40
        .size:           8
        .value_kind:     global_buffer
      - .actual_access:  write_only
        .address_space:  global
        .offset:         48
        .size:           8
        .value_kind:     global_buffer
      - .offset:         56
        .size:           4
        .value_kind:     hidden_block_count_x
      - .offset:         60
        .size:           4
        .value_kind:     hidden_block_count_y
      - .offset:         64
        .size:           4
        .value_kind:     hidden_block_count_z
      - .offset:         68
        .size:           2
        .value_kind:     hidden_group_size_x
      - .offset:         70
        .size:           2
        .value_kind:     hidden_group_size_y
      - .offset:         72
        .size:           2
        .value_kind:     hidden_group_size_z
      - .offset:         74
        .size:           2
        .value_kind:     hidden_remainder_x
      - .offset:         76
        .size:           2
        .value_kind:     hidden_remainder_y
      - .offset:         78
        .size:           2
        .value_kind:     hidden_remainder_z
      - .offset:         96
        .size:           8
        .value_kind:     hidden_global_offset_x
      - .offset:         104
        .size:           8
        .value_kind:     hidden_global_offset_y
      - .offset:         112
        .size:           8
        .value_kind:     hidden_global_offset_z
      - .offset:         120
        .size:           2
        .value_kind:     hidden_grid_dims
    .group_segment_fixed_size: 10240
    .kernarg_segment_align: 8
    .kernarg_segment_size: 312
    .language:       OpenCL C
    .language_version:
      - 2
      - 0
    .max_flat_workgroup_size: 256
    .name:           _ZN9rocsparseL34gtsv_nopivot_cr_pow2_stage2_kernelILj256EfEEviiiPKT0_S3_S3_S3_PS1_
    .private_segment_fixed_size: 0
    .sgpr_count:     30
    .sgpr_spill_count: 0
    .symbol:         _ZN9rocsparseL34gtsv_nopivot_cr_pow2_stage2_kernelILj256EfEEviiiPKT0_S3_S3_S3_PS1_.kd
    .uniform_work_group_size: 1
    .uses_dynamic_stack: false
    .vgpr_count:     28
    .vgpr_spill_count: 0
    .wavefront_size: 64
  - .args:
      - .offset:         0
        .size:           4
        .value_kind:     by_value
      - .offset:         4
        .size:           4
        .value_kind:     by_value
      - .offset:         8
        .size:           4
        .value_kind:     by_value
      - .offset:         12
        .size:           4
        .value_kind:     by_value
      - .actual_access:  read_only
        .address_space:  global
        .offset:         16
        .size:           8
        .value_kind:     global_buffer
      - .actual_access:  read_only
        .address_space:  global
        .offset:         24
        .size:           8
        .value_kind:     global_buffer
      - .actual_access:  read_only
        .address_space:  global
        .offset:         32
        .size:           8
        .value_kind:     global_buffer
      - .actual_access:  read_only
        .address_space:  global
        .offset:         40
        .size:           8
        .value_kind:     global_buffer
      - .actual_access:  write_only
        .address_space:  global
        .offset:         48
        .size:           8
        .value_kind:     global_buffer
      - .actual_access:  write_only
        .address_space:  global
        .offset:         56
        .size:           8
        .value_kind:     global_buffer
      - .actual_access:  write_only
        .address_space:  global
        .offset:         64
        .size:           8
        .value_kind:     global_buffer
      - .actual_access:  write_only
        .address_space:  global
        .offset:         72
        .size:           8
        .value_kind:     global_buffer
    .group_segment_fixed_size: 0
    .kernarg_segment_align: 8
    .kernarg_segment_size: 80
    .language:       OpenCL C
    .language_version:
      - 2
      - 0
    .max_flat_workgroup_size: 256
    .name:           _ZN9rocsparseL32gtsv_nopivot_pcr_stage1_n_kernelILj256EfEEviiiiPKT0_S3_S3_S3_PS1_S4_S4_S4_
    .private_segment_fixed_size: 0
    .sgpr_count:     24
    .sgpr_spill_count: 0
    .symbol:         _ZN9rocsparseL32gtsv_nopivot_pcr_stage1_n_kernelILj256EfEEviiiiPKT0_S3_S3_S3_PS1_S4_S4_S4_.kd
    .uniform_work_group_size: 1
    .uses_dynamic_stack: false
    .vgpr_count:     24
    .vgpr_spill_count: 0
    .wavefront_size: 64
  - .args:
      - .offset:         0
        .size:           4
        .value_kind:     by_value
      - .offset:         4
        .size:           4
        .value_kind:     by_value
      - .offset:         8
        .size:           4
        .value_kind:     by_value
      - .actual_access:  read_only
        .address_space:  global
        .offset:         16
        .size:           8
        .value_kind:     global_buffer
      - .actual_access:  read_only
        .address_space:  global
        .offset:         24
        .size:           8
        .value_kind:     global_buffer
      - .actual_access:  read_only
        .address_space:  global
        .offset:         32
        .size:           8
        .value_kind:     global_buffer
      - .actual_access:  read_only
        .address_space:  global
        .offset:         40
        .size:           8
        .value_kind:     global_buffer
      - .actual_access:  write_only
        .address_space:  global
        .offset:         48
        .size:           8
        .value_kind:     global_buffer
      - .offset:         56
        .size:           4
        .value_kind:     hidden_block_count_x
      - .offset:         60
        .size:           4
        .value_kind:     hidden_block_count_y
      - .offset:         64
        .size:           4
        .value_kind:     hidden_block_count_z
      - .offset:         68
        .size:           2
        .value_kind:     hidden_group_size_x
      - .offset:         70
        .size:           2
        .value_kind:     hidden_group_size_y
      - .offset:         72
        .size:           2
        .value_kind:     hidden_group_size_z
      - .offset:         74
        .size:           2
        .value_kind:     hidden_remainder_x
      - .offset:         76
        .size:           2
        .value_kind:     hidden_remainder_y
      - .offset:         78
        .size:           2
        .value_kind:     hidden_remainder_z
      - .offset:         96
        .size:           8
        .value_kind:     hidden_global_offset_x
      - .offset:         104
        .size:           8
        .value_kind:     hidden_global_offset_y
      - .offset:         112
        .size:           8
        .value_kind:     hidden_global_offset_z
      - .offset:         120
        .size:           2
        .value_kind:     hidden_grid_dims
    .group_segment_fixed_size: 10240
    .kernarg_segment_align: 8
    .kernarg_segment_size: 312
    .language:       OpenCL C
    .language_version:
      - 2
      - 0
    .max_flat_workgroup_size: 512
    .name:           _ZN9rocsparseL30gtsv_nopivot_pcr_stage2_kernelILj512EfEEviiiPKT0_S3_S3_S3_PS1_
    .private_segment_fixed_size: 0
    .sgpr_count:     22
    .sgpr_spill_count: 0
    .symbol:         _ZN9rocsparseL30gtsv_nopivot_pcr_stage2_kernelILj512EfEEviiiPKT0_S3_S3_S3_PS1_.kd
    .uniform_work_group_size: 1
    .uses_dynamic_stack: false
    .vgpr_count:     22
    .vgpr_spill_count: 0
    .wavefront_size: 64
  - .args:
      - .offset:         0
        .size:           4
        .value_kind:     by_value
      - .offset:         4
        .size:           4
        .value_kind:     by_value
      - .offset:         8
        .size:           4
        .value_kind:     by_value
      - .offset:         12
        .size:           4
        .value_kind:     by_value
      - .actual_access:  read_only
        .address_space:  global
        .offset:         16
        .size:           8
        .value_kind:     global_buffer
      - .actual_access:  read_only
        .address_space:  global
        .offset:         24
        .size:           8
        .value_kind:     global_buffer
      - .actual_access:  read_only
        .address_space:  global
        .offset:         32
        .size:           8
        .value_kind:     global_buffer
      - .actual_access:  read_only
        .address_space:  global
        .offset:         40
        .size:           8
        .value_kind:     global_buffer
      - .actual_access:  write_only
        .address_space:  global
        .offset:         48
        .size:           8
        .value_kind:     global_buffer
      - .actual_access:  write_only
        .address_space:  global
        .offset:         56
        .size:           8
        .value_kind:     global_buffer
      - .actual_access:  write_only
        .address_space:  global
        .offset:         64
        .size:           8
        .value_kind:     global_buffer
      - .actual_access:  write_only
        .address_space:  global
        .offset:         72
        .size:           8
        .value_kind:     global_buffer
    .group_segment_fixed_size: 0
    .kernarg_segment_align: 8
    .kernarg_segment_size: 80
    .language:       OpenCL C
    .language_version:
      - 2
      - 0
    .max_flat_workgroup_size: 256
    .name:           _ZN9rocsparseL35gtsv_nopivot_pcr_pow2_stage1_kernelILj256EfEEviiiiPKT0_S3_S3_S3_PS1_S4_S4_S4_
    .private_segment_fixed_size: 0
    .sgpr_count:     24
    .sgpr_spill_count: 0
    .symbol:         _ZN9rocsparseL35gtsv_nopivot_pcr_pow2_stage1_kernelILj256EfEEviiiiPKT0_S3_S3_S3_PS1_S4_S4_S4_.kd
    .uniform_work_group_size: 1
    .uses_dynamic_stack: false
    .vgpr_count:     21
    .vgpr_spill_count: 0
    .wavefront_size: 64
  - .args:
      - .offset:         0
        .size:           4
        .value_kind:     by_value
      - .offset:         4
        .size:           4
        .value_kind:     by_value
      - .offset:         8
        .size:           4
        .value_kind:     by_value
      - .offset:         12
        .size:           4
        .value_kind:     by_value
      - .actual_access:  read_only
        .address_space:  global
        .offset:         16
        .size:           8
        .value_kind:     global_buffer
      - .actual_access:  read_only
        .address_space:  global
        .offset:         24
        .size:           8
        .value_kind:     global_buffer
      - .actual_access:  read_only
        .address_space:  global
        .offset:         32
        .size:           8
        .value_kind:     global_buffer
      - .actual_access:  read_only
        .address_space:  global
        .offset:         40
        .size:           8
        .value_kind:     global_buffer
      - .actual_access:  read_only
        .address_space:  global
        .offset:         48
        .size:           8
        .value_kind:     global_buffer
      - .actual_access:  read_only
        .address_space:  global
        .offset:         56
        .size:           8
        .value_kind:     global_buffer
      - .address_space:  global
        .offset:         64
        .size:           8
        .value_kind:     global_buffer
      - .address_space:  global
        .offset:         72
        .size:           8
        .value_kind:     global_buffer
      - .address_space:  global
        .offset:         80
        .size:           8
        .value_kind:     global_buffer
    .group_segment_fixed_size: 0
    .kernarg_segment_align: 8
    .kernarg_segment_size: 88
    .language:       OpenCL C
    .language_version:
      - 2
      - 0
    .max_flat_workgroup_size: 256
    .name:           _ZN9rocsparseL38gtsv_nopivot_thomas_pow2_stage2_kernelILj256ELj512EfEEviiiiPKT1_S3_S3_S3_PS1_S4_S4_S4_S4_
    .private_segment_fixed_size: 0
    .sgpr_count:     28
    .sgpr_spill_count: 0
    .symbol:         _ZN9rocsparseL38gtsv_nopivot_thomas_pow2_stage2_kernelILj256ELj512EfEEviiiiPKT1_S3_S3_S3_PS1_S4_S4_S4_S4_.kd
    .uniform_work_group_size: 1
    .uses_dynamic_stack: false
    .vgpr_count:     28
    .vgpr_spill_count: 0
    .wavefront_size: 64
  - .args:
      - .offset:         0
        .size:           4
        .value_kind:     by_value
      - .offset:         4
        .size:           4
        .value_kind:     by_value
      - .offset:         8
        .size:           4
        .value_kind:     by_value
      - .offset:         12
        .size:           4
        .value_kind:     by_value
      - .actual_access:  read_only
        .address_space:  global
        .offset:         16
        .size:           8
        .value_kind:     global_buffer
      - .actual_access:  read_only
        .address_space:  global
        .offset:         24
        .size:           8
        .value_kind:     global_buffer
      - .actual_access:  read_only
        .address_space:  global
        .offset:         32
        .size:           8
        .value_kind:     global_buffer
      - .actual_access:  read_only
        .address_space:  global
        .offset:         40
        .size:           8
        .value_kind:     global_buffer
      - .actual_access:  write_only
        .address_space:  global
        .offset:         48
        .size:           8
        .value_kind:     global_buffer
      - .actual_access:  write_only
        .address_space:  global
        .offset:         56
        .size:           8
        .value_kind:     global_buffer
      - .actual_access:  write_only
        .address_space:  global
        .offset:         64
        .size:           8
        .value_kind:     global_buffer
      - .actual_access:  write_only
        .address_space:  global
        .offset:         72
        .size:           8
        .value_kind:     global_buffer
    .group_segment_fixed_size: 0
    .kernarg_segment_align: 8
    .kernarg_segment_size: 80
    .language:       OpenCL C
    .language_version:
      - 2
      - 0
    .max_flat_workgroup_size: 256
    .name:           _ZN9rocsparseL30gtsv_nopivot_pcr_stage1_kernelILj256EfEEviiiiPKT0_S3_S3_S3_PS1_S4_S4_S4_
    .private_segment_fixed_size: 0
    .sgpr_count:     20
    .sgpr_spill_count: 0
    .symbol:         _ZN9rocsparseL30gtsv_nopivot_pcr_stage1_kernelILj256EfEEviiiiPKT0_S3_S3_S3_PS1_S4_S4_S4_.kd
    .uniform_work_group_size: 1
    .uses_dynamic_stack: false
    .vgpr_count:     24
    .vgpr_spill_count: 0
    .wavefront_size: 64
  - .args:
      - .offset:         0
        .size:           4
        .value_kind:     by_value
      - .offset:         4
        .size:           4
        .value_kind:     by_value
      - .offset:         8
        .size:           4
        .value_kind:     by_value
      - .offset:         12
        .size:           4
        .value_kind:     by_value
      - .actual_access:  read_only
        .address_space:  global
        .offset:         16
        .size:           8
        .value_kind:     global_buffer
      - .actual_access:  read_only
        .address_space:  global
        .offset:         24
        .size:           8
        .value_kind:     global_buffer
      - .actual_access:  read_only
        .address_space:  global
        .offset:         32
        .size:           8
        .value_kind:     global_buffer
      - .actual_access:  read_only
        .address_space:  global
        .offset:         40
        .size:           8
        .value_kind:     global_buffer
      - .actual_access:  read_only
        .address_space:  global
        .offset:         48
        .size:           8
        .value_kind:     global_buffer
      - .actual_access:  read_only
        .address_space:  global
        .offset:         56
        .size:           8
        .value_kind:     global_buffer
      - .address_space:  global
        .offset:         64
        .size:           8
        .value_kind:     global_buffer
      - .address_space:  global
        .offset:         72
        .size:           8
        .value_kind:     global_buffer
      - .address_space:  global
        .offset:         80
        .size:           8
        .value_kind:     global_buffer
    .group_segment_fixed_size: 0
    .kernarg_segment_align: 8
    .kernarg_segment_size: 88
    .language:       OpenCL C
    .language_version:
      - 2
      - 0
    .max_flat_workgroup_size: 256
    .name:           _ZN9rocsparseL33gtsv_nopivot_thomas_stage2_kernelILj256EfEEviiiiPKT0_S3_S3_S3_PS1_S4_S4_S4_S4_
    .private_segment_fixed_size: 0
    .sgpr_count:     30
    .sgpr_spill_count: 0
    .symbol:         _ZN9rocsparseL33gtsv_nopivot_thomas_stage2_kernelILj256EfEEviiiiPKT0_S3_S3_S3_PS1_S4_S4_S4_S4_.kd
    .uniform_work_group_size: 1
    .uses_dynamic_stack: false
    .vgpr_count:     28
    .vgpr_spill_count: 0
    .wavefront_size: 64
  - .args:
      - .offset:         0
        .size:           4
        .value_kind:     by_value
      - .offset:         4
        .size:           4
        .value_kind:     by_value
      - .offset:         8
        .size:           4
        .value_kind:     by_value
      - .actual_access:  read_only
        .address_space:  global
        .offset:         16
        .size:           8
        .value_kind:     global_buffer
      - .actual_access:  read_only
        .address_space:  global
        .offset:         24
        .size:           8
        .value_kind:     global_buffer
      - .actual_access:  read_only
        .address_space:  global
        .offset:         32
        .size:           8
        .value_kind:     global_buffer
      - .address_space:  global
        .offset:         40
        .size:           8
        .value_kind:     global_buffer
    .group_segment_fixed_size: 152
    .kernarg_segment_align: 8
    .kernarg_segment_size: 48
    .language:       OpenCL C
    .language_version:
      - 2
      - 0
    .max_flat_workgroup_size: 2
    .name:           _ZN9rocsparseL35gtsv_nopivot_pcr_pow2_shared_kernelILj2EdEEviiiPKT0_S3_S3_PS1_
    .private_segment_fixed_size: 0
    .sgpr_count:     20
    .sgpr_spill_count: 0
    .symbol:         _ZN9rocsparseL35gtsv_nopivot_pcr_pow2_shared_kernelILj2EdEEviiiPKT0_S3_S3_PS1_.kd
    .uniform_work_group_size: 1
    .uses_dynamic_stack: false
    .vgpr_count:     23
    .vgpr_spill_count: 0
    .wavefront_size: 64
  - .args:
      - .offset:         0
        .size:           4
        .value_kind:     by_value
      - .offset:         4
        .size:           4
        .value_kind:     by_value
      - .offset:         8
        .size:           4
        .value_kind:     by_value
      - .actual_access:  read_only
        .address_space:  global
        .offset:         16
        .size:           8
        .value_kind:     global_buffer
      - .actual_access:  read_only
        .address_space:  global
        .offset:         24
        .size:           8
        .value_kind:     global_buffer
      - .actual_access:  read_only
        .address_space:  global
        .offset:         32
        .size:           8
        .value_kind:     global_buffer
      - .address_space:  global
        .offset:         40
        .size:           8
        .value_kind:     global_buffer
    .group_segment_fixed_size: 232
    .kernarg_segment_align: 8
    .kernarg_segment_size: 48
    .language:       OpenCL C
    .language_version:
      - 2
      - 0
    .max_flat_workgroup_size: 4
    .name:           _ZN9rocsparseL35gtsv_nopivot_pcr_pow2_shared_kernelILj4EdEEviiiPKT0_S3_S3_PS1_
    .private_segment_fixed_size: 0
    .sgpr_count:     20
    .sgpr_spill_count: 0
    .symbol:         _ZN9rocsparseL35gtsv_nopivot_pcr_pow2_shared_kernelILj4EdEEviiiPKT0_S3_S3_PS1_.kd
    .uniform_work_group_size: 1
    .uses_dynamic_stack: false
    .vgpr_count:     34
    .vgpr_spill_count: 0
    .wavefront_size: 64
  - .args:
      - .offset:         0
        .size:           4
        .value_kind:     by_value
      - .offset:         4
        .size:           4
        .value_kind:     by_value
      - .offset:         8
        .size:           4
        .value_kind:     by_value
      - .actual_access:  read_only
        .address_space:  global
        .offset:         16
        .size:           8
        .value_kind:     global_buffer
      - .actual_access:  read_only
        .address_space:  global
        .offset:         24
        .size:           8
        .value_kind:     global_buffer
      - .actual_access:  read_only
        .address_space:  global
        .offset:         32
        .size:           8
        .value_kind:     global_buffer
      - .address_space:  global
        .offset:         40
        .size:           8
        .value_kind:     global_buffer
    .group_segment_fixed_size: 392
    .kernarg_segment_align: 8
    .kernarg_segment_size: 48
    .language:       OpenCL C
    .language_version:
      - 2
      - 0
    .max_flat_workgroup_size: 8
    .name:           _ZN9rocsparseL35gtsv_nopivot_pcr_pow2_shared_kernelILj8EdEEviiiPKT0_S3_S3_PS1_
    .private_segment_fixed_size: 0
    .sgpr_count:     20
    .sgpr_spill_count: 0
    .symbol:         _ZN9rocsparseL35gtsv_nopivot_pcr_pow2_shared_kernelILj8EdEEviiiPKT0_S3_S3_PS1_.kd
    .uniform_work_group_size: 1
    .uses_dynamic_stack: false
    .vgpr_count:     34
    .vgpr_spill_count: 0
    .wavefront_size: 64
  - .args:
      - .offset:         0
        .size:           4
        .value_kind:     by_value
      - .offset:         4
        .size:           4
        .value_kind:     by_value
      - .offset:         8
        .size:           4
        .value_kind:     by_value
      - .actual_access:  read_only
        .address_space:  global
        .offset:         16
        .size:           8
        .value_kind:     global_buffer
      - .actual_access:  read_only
        .address_space:  global
        .offset:         24
        .size:           8
        .value_kind:     global_buffer
      - .actual_access:  read_only
        .address_space:  global
        .offset:         32
        .size:           8
        .value_kind:     global_buffer
      - .address_space:  global
        .offset:         40
        .size:           8
        .value_kind:     global_buffer
    .group_segment_fixed_size: 712
    .kernarg_segment_align: 8
    .kernarg_segment_size: 48
    .language:       OpenCL C
    .language_version:
      - 2
      - 0
    .max_flat_workgroup_size: 16
    .name:           _ZN9rocsparseL35gtsv_nopivot_pcr_pow2_shared_kernelILj16EdEEviiiPKT0_S3_S3_PS1_
    .private_segment_fixed_size: 0
    .sgpr_count:     20
    .sgpr_spill_count: 0
    .symbol:         _ZN9rocsparseL35gtsv_nopivot_pcr_pow2_shared_kernelILj16EdEEviiiPKT0_S3_S3_PS1_.kd
    .uniform_work_group_size: 1
    .uses_dynamic_stack: false
    .vgpr_count:     34
    .vgpr_spill_count: 0
    .wavefront_size: 64
  - .args:
      - .offset:         0
        .size:           4
        .value_kind:     by_value
      - .offset:         4
        .size:           4
        .value_kind:     by_value
      - .offset:         8
        .size:           4
        .value_kind:     by_value
      - .actual_access:  read_only
        .address_space:  global
        .offset:         16
        .size:           8
        .value_kind:     global_buffer
      - .actual_access:  read_only
        .address_space:  global
        .offset:         24
        .size:           8
        .value_kind:     global_buffer
      - .actual_access:  read_only
        .address_space:  global
        .offset:         32
        .size:           8
        .value_kind:     global_buffer
      - .address_space:  global
        .offset:         40
        .size:           8
        .value_kind:     global_buffer
    .group_segment_fixed_size: 1352
    .kernarg_segment_align: 8
    .kernarg_segment_size: 48
    .language:       OpenCL C
    .language_version:
      - 2
      - 0
    .max_flat_workgroup_size: 32
    .name:           _ZN9rocsparseL35gtsv_nopivot_pcr_pow2_shared_kernelILj32EdEEviiiPKT0_S3_S3_PS1_
    .private_segment_fixed_size: 0
    .sgpr_count:     20
    .sgpr_spill_count: 0
    .symbol:         _ZN9rocsparseL35gtsv_nopivot_pcr_pow2_shared_kernelILj32EdEEviiiPKT0_S3_S3_PS1_.kd
    .uniform_work_group_size: 1
    .uses_dynamic_stack: false
    .vgpr_count:     34
    .vgpr_spill_count: 0
    .wavefront_size: 64
  - .args:
      - .offset:         0
        .size:           4
        .value_kind:     by_value
      - .offset:         4
        .size:           4
        .value_kind:     by_value
      - .offset:         8
        .size:           4
        .value_kind:     by_value
      - .actual_access:  read_only
        .address_space:  global
        .offset:         16
        .size:           8
        .value_kind:     global_buffer
      - .actual_access:  read_only
        .address_space:  global
        .offset:         24
        .size:           8
        .value_kind:     global_buffer
      - .actual_access:  read_only
        .address_space:  global
        .offset:         32
        .size:           8
        .value_kind:     global_buffer
      - .address_space:  global
        .offset:         40
        .size:           8
        .value_kind:     global_buffer
    .group_segment_fixed_size: 2632
    .kernarg_segment_align: 8
    .kernarg_segment_size: 48
    .language:       OpenCL C
    .language_version:
      - 2
      - 0
    .max_flat_workgroup_size: 64
    .name:           _ZN9rocsparseL35gtsv_nopivot_pcr_pow2_shared_kernelILj64EdEEviiiPKT0_S3_S3_PS1_
    .private_segment_fixed_size: 0
    .sgpr_count:     20
    .sgpr_spill_count: 0
    .symbol:         _ZN9rocsparseL35gtsv_nopivot_pcr_pow2_shared_kernelILj64EdEEviiiPKT0_S3_S3_PS1_.kd
    .uniform_work_group_size: 1
    .uses_dynamic_stack: false
    .vgpr_count:     37
    .vgpr_spill_count: 0
    .wavefront_size: 64
  - .args:
      - .offset:         0
        .size:           4
        .value_kind:     by_value
      - .offset:         4
        .size:           4
        .value_kind:     by_value
      - .offset:         8
        .size:           4
        .value_kind:     by_value
      - .actual_access:  read_only
        .address_space:  global
        .offset:         16
        .size:           8
        .value_kind:     global_buffer
      - .actual_access:  read_only
        .address_space:  global
        .offset:         24
        .size:           8
        .value_kind:     global_buffer
      - .actual_access:  read_only
        .address_space:  global
        .offset:         32
        .size:           8
        .value_kind:     global_buffer
      - .address_space:  global
        .offset:         40
        .size:           8
        .value_kind:     global_buffer
    .group_segment_fixed_size: 7680
    .kernarg_segment_align: 8
    .kernarg_segment_size: 48
    .language:       OpenCL C
    .language_version:
      - 2
      - 0
    .max_flat_workgroup_size: 64
    .name:           _ZN9rocsparseL37gtsv_nopivot_crpcr_pow2_shared_kernelILj64ELj64EdEEviiiPKT1_S3_S3_PS1_
    .private_segment_fixed_size: 0
    .sgpr_count:     20
    .sgpr_spill_count: 0
    .symbol:         _ZN9rocsparseL37gtsv_nopivot_crpcr_pow2_shared_kernelILj64ELj64EdEEviiiPKT1_S3_S3_PS1_.kd
    .uniform_work_group_size: 1
    .uses_dynamic_stack: false
    .vgpr_count:     50
    .vgpr_spill_count: 0
    .wavefront_size: 64
  - .args:
      - .offset:         0
        .size:           4
        .value_kind:     by_value
      - .offset:         4
        .size:           4
        .value_kind:     by_value
      - .offset:         8
        .size:           4
        .value_kind:     by_value
      - .actual_access:  read_only
        .address_space:  global
        .offset:         16
        .size:           8
        .value_kind:     global_buffer
      - .actual_access:  read_only
        .address_space:  global
        .offset:         24
        .size:           8
        .value_kind:     global_buffer
      - .actual_access:  read_only
        .address_space:  global
        .offset:         32
        .size:           8
        .value_kind:     global_buffer
      - .address_space:  global
        .offset:         40
        .size:           8
        .value_kind:     global_buffer
    .group_segment_fixed_size: 12800
    .kernarg_segment_align: 8
    .kernarg_segment_size: 48
    .language:       OpenCL C
    .language_version:
      - 2
      - 0
    .max_flat_workgroup_size: 128
    .name:           _ZN9rocsparseL37gtsv_nopivot_crpcr_pow2_shared_kernelILj128ELj64EdEEviiiPKT1_S3_S3_PS1_
    .private_segment_fixed_size: 0
    .sgpr_count:     20
    .sgpr_spill_count: 0
    .symbol:         _ZN9rocsparseL37gtsv_nopivot_crpcr_pow2_shared_kernelILj128ELj64EdEEviiiPKT1_S3_S3_PS1_.kd
    .uniform_work_group_size: 1
    .uses_dynamic_stack: false
    .vgpr_count:     45
    .vgpr_spill_count: 0
    .wavefront_size: 64
  - .args:
      - .offset:         0
        .size:           4
        .value_kind:     by_value
      - .offset:         4
        .size:           4
        .value_kind:     by_value
      - .offset:         8
        .size:           4
        .value_kind:     by_value
      - .actual_access:  read_only
        .address_space:  global
        .offset:         16
        .size:           8
        .value_kind:     global_buffer
      - .actual_access:  read_only
        .address_space:  global
        .offset:         24
        .size:           8
        .value_kind:     global_buffer
      - .actual_access:  read_only
        .address_space:  global
        .offset:         32
        .size:           8
        .value_kind:     global_buffer
      - .address_space:  global
        .offset:         40
        .size:           8
        .value_kind:     global_buffer
    .group_segment_fixed_size: 23040
    .kernarg_segment_align: 8
    .kernarg_segment_size: 48
    .language:       OpenCL C
    .language_version:
      - 2
      - 0
    .max_flat_workgroup_size: 256
    .name:           _ZN9rocsparseL37gtsv_nopivot_crpcr_pow2_shared_kernelILj256ELj64EdEEviiiPKT1_S3_S3_PS1_
    .private_segment_fixed_size: 0
    .sgpr_count:     20
    .sgpr_spill_count: 0
    .symbol:         _ZN9rocsparseL37gtsv_nopivot_crpcr_pow2_shared_kernelILj256ELj64EdEEviiiPKT1_S3_S3_PS1_.kd
    .uniform_work_group_size: 1
    .uses_dynamic_stack: false
    .vgpr_count:     45
    .vgpr_spill_count: 0
    .wavefront_size: 64
  - .args:
      - .offset:         0
        .size:           4
        .value_kind:     by_value
      - .offset:         4
        .size:           4
        .value_kind:     by_value
      - .offset:         8
        .size:           4
        .value_kind:     by_value
      - .actual_access:  read_only
        .address_space:  global
        .offset:         16
        .size:           8
        .value_kind:     global_buffer
      - .actual_access:  read_only
        .address_space:  global
        .offset:         24
        .size:           8
        .value_kind:     global_buffer
      - .actual_access:  read_only
        .address_space:  global
        .offset:         32
        .size:           8
        .value_kind:     global_buffer
      - .address_space:  global
        .offset:         40
        .size:           8
        .value_kind:     global_buffer
    .group_segment_fixed_size: 160
    .kernarg_segment_align: 8
    .kernarg_segment_size: 48
    .language:       OpenCL C
    .language_version:
      - 2
      - 0
    .max_flat_workgroup_size: 4
    .name:           _ZN9rocsparseL30gtsv_nopivot_pcr_shared_kernelILj4EdEEviiiPKT0_S3_S3_PS1_
    .private_segment_fixed_size: 0
    .sgpr_count:     16
    .sgpr_spill_count: 0
    .symbol:         _ZN9rocsparseL30gtsv_nopivot_pcr_shared_kernelILj4EdEEviiiPKT0_S3_S3_PS1_.kd
    .uniform_work_group_size: 1
    .uses_dynamic_stack: false
    .vgpr_count:     25
    .vgpr_spill_count: 0
    .wavefront_size: 64
  - .args:
      - .offset:         0
        .size:           4
        .value_kind:     by_value
      - .offset:         4
        .size:           4
        .value_kind:     by_value
      - .offset:         8
        .size:           4
        .value_kind:     by_value
      - .actual_access:  read_only
        .address_space:  global
        .offset:         16
        .size:           8
        .value_kind:     global_buffer
      - .actual_access:  read_only
        .address_space:  global
        .offset:         24
        .size:           8
        .value_kind:     global_buffer
      - .actual_access:  read_only
        .address_space:  global
        .offset:         32
        .size:           8
        .value_kind:     global_buffer
      - .address_space:  global
        .offset:         40
        .size:           8
        .value_kind:     global_buffer
    .group_segment_fixed_size: 320
    .kernarg_segment_align: 8
    .kernarg_segment_size: 48
    .language:       OpenCL C
    .language_version:
      - 2
      - 0
    .max_flat_workgroup_size: 8
    .name:           _ZN9rocsparseL30gtsv_nopivot_pcr_shared_kernelILj8EdEEviiiPKT0_S3_S3_PS1_
    .private_segment_fixed_size: 0
    .sgpr_count:     16
    .sgpr_spill_count: 0
    .symbol:         _ZN9rocsparseL30gtsv_nopivot_pcr_shared_kernelILj8EdEEviiiPKT0_S3_S3_PS1_.kd
    .uniform_work_group_size: 1
    .uses_dynamic_stack: false
    .vgpr_count:     25
    .vgpr_spill_count: 0
    .wavefront_size: 64
  - .args:
      - .offset:         0
        .size:           4
        .value_kind:     by_value
      - .offset:         4
        .size:           4
        .value_kind:     by_value
      - .offset:         8
        .size:           4
        .value_kind:     by_value
      - .actual_access:  read_only
        .address_space:  global
        .offset:         16
        .size:           8
        .value_kind:     global_buffer
      - .actual_access:  read_only
        .address_space:  global
        .offset:         24
        .size:           8
        .value_kind:     global_buffer
      - .actual_access:  read_only
        .address_space:  global
        .offset:         32
        .size:           8
        .value_kind:     global_buffer
      - .address_space:  global
        .offset:         40
        .size:           8
        .value_kind:     global_buffer
    .group_segment_fixed_size: 640
    .kernarg_segment_align: 8
    .kernarg_segment_size: 48
    .language:       OpenCL C
    .language_version:
      - 2
      - 0
    .max_flat_workgroup_size: 16
    .name:           _ZN9rocsparseL30gtsv_nopivot_pcr_shared_kernelILj16EdEEviiiPKT0_S3_S3_PS1_
    .private_segment_fixed_size: 0
    .sgpr_count:     16
    .sgpr_spill_count: 0
    .symbol:         _ZN9rocsparseL30gtsv_nopivot_pcr_shared_kernelILj16EdEEviiiPKT0_S3_S3_PS1_.kd
    .uniform_work_group_size: 1
    .uses_dynamic_stack: false
    .vgpr_count:     25
    .vgpr_spill_count: 0
    .wavefront_size: 64
  - .args:
      - .offset:         0
        .size:           4
        .value_kind:     by_value
      - .offset:         4
        .size:           4
        .value_kind:     by_value
      - .offset:         8
        .size:           4
        .value_kind:     by_value
      - .actual_access:  read_only
        .address_space:  global
        .offset:         16
        .size:           8
        .value_kind:     global_buffer
      - .actual_access:  read_only
        .address_space:  global
        .offset:         24
        .size:           8
        .value_kind:     global_buffer
      - .actual_access:  read_only
        .address_space:  global
        .offset:         32
        .size:           8
        .value_kind:     global_buffer
      - .address_space:  global
        .offset:         40
        .size:           8
        .value_kind:     global_buffer
    .group_segment_fixed_size: 1280
    .kernarg_segment_align: 8
    .kernarg_segment_size: 48
    .language:       OpenCL C
    .language_version:
      - 2
      - 0
    .max_flat_workgroup_size: 32
    .name:           _ZN9rocsparseL30gtsv_nopivot_pcr_shared_kernelILj32EdEEviiiPKT0_S3_S3_PS1_
    .private_segment_fixed_size: 0
    .sgpr_count:     16
    .sgpr_spill_count: 0
    .symbol:         _ZN9rocsparseL30gtsv_nopivot_pcr_shared_kernelILj32EdEEviiiPKT0_S3_S3_PS1_.kd
    .uniform_work_group_size: 1
    .uses_dynamic_stack: false
    .vgpr_count:     25
    .vgpr_spill_count: 0
    .wavefront_size: 64
  - .args:
      - .offset:         0
        .size:           4
        .value_kind:     by_value
      - .offset:         4
        .size:           4
        .value_kind:     by_value
      - .offset:         8
        .size:           4
        .value_kind:     by_value
      - .actual_access:  read_only
        .address_space:  global
        .offset:         16
        .size:           8
        .value_kind:     global_buffer
      - .actual_access:  read_only
        .address_space:  global
        .offset:         24
        .size:           8
        .value_kind:     global_buffer
      - .actual_access:  read_only
        .address_space:  global
        .offset:         32
        .size:           8
        .value_kind:     global_buffer
      - .address_space:  global
        .offset:         40
        .size:           8
        .value_kind:     global_buffer
    .group_segment_fixed_size: 2560
    .kernarg_segment_align: 8
    .kernarg_segment_size: 48
    .language:       OpenCL C
    .language_version:
      - 2
      - 0
    .max_flat_workgroup_size: 64
    .name:           _ZN9rocsparseL30gtsv_nopivot_pcr_shared_kernelILj64EdEEviiiPKT0_S3_S3_PS1_
    .private_segment_fixed_size: 0
    .sgpr_count:     16
    .sgpr_spill_count: 0
    .symbol:         _ZN9rocsparseL30gtsv_nopivot_pcr_shared_kernelILj64EdEEviiiPKT0_S3_S3_PS1_.kd
    .uniform_work_group_size: 1
    .uses_dynamic_stack: false
    .vgpr_count:     25
    .vgpr_spill_count: 0
    .wavefront_size: 64
  - .args:
      - .offset:         0
        .size:           4
        .value_kind:     by_value
      - .offset:         4
        .size:           4
        .value_kind:     by_value
      - .offset:         8
        .size:           4
        .value_kind:     by_value
      - .actual_access:  read_only
        .address_space:  global
        .offset:         16
        .size:           8
        .value_kind:     global_buffer
      - .actual_access:  read_only
        .address_space:  global
        .offset:         24
        .size:           8
        .value_kind:     global_buffer
      - .actual_access:  read_only
        .address_space:  global
        .offset:         32
        .size:           8
        .value_kind:     global_buffer
      - .address_space:  global
        .offset:         40
        .size:           8
        .value_kind:     global_buffer
    .group_segment_fixed_size: 5120
    .kernarg_segment_align: 8
    .kernarg_segment_size: 48
    .language:       OpenCL C
    .language_version:
      - 2
      - 0
    .max_flat_workgroup_size: 128
    .name:           _ZN9rocsparseL30gtsv_nopivot_pcr_shared_kernelILj128EdEEviiiPKT0_S3_S3_PS1_
    .private_segment_fixed_size: 0
    .sgpr_count:     16
    .sgpr_spill_count: 0
    .symbol:         _ZN9rocsparseL30gtsv_nopivot_pcr_shared_kernelILj128EdEEviiiPKT0_S3_S3_PS1_.kd
    .uniform_work_group_size: 1
    .uses_dynamic_stack: false
    .vgpr_count:     37
    .vgpr_spill_count: 0
    .wavefront_size: 64
  - .args:
      - .offset:         0
        .size:           4
        .value_kind:     by_value
      - .offset:         4
        .size:           4
        .value_kind:     by_value
      - .offset:         8
        .size:           4
        .value_kind:     by_value
      - .actual_access:  read_only
        .address_space:  global
        .offset:         16
        .size:           8
        .value_kind:     global_buffer
      - .actual_access:  read_only
        .address_space:  global
        .offset:         24
        .size:           8
        .value_kind:     global_buffer
      - .actual_access:  read_only
        .address_space:  global
        .offset:         32
        .size:           8
        .value_kind:     global_buffer
      - .address_space:  global
        .offset:         40
        .size:           8
        .value_kind:     global_buffer
    .group_segment_fixed_size: 10240
    .kernarg_segment_align: 8
    .kernarg_segment_size: 48
    .language:       OpenCL C
    .language_version:
      - 2
      - 0
    .max_flat_workgroup_size: 256
    .name:           _ZN9rocsparseL30gtsv_nopivot_pcr_shared_kernelILj256EdEEviiiPKT0_S3_S3_PS1_
    .private_segment_fixed_size: 0
    .sgpr_count:     16
    .sgpr_spill_count: 0
    .symbol:         _ZN9rocsparseL30gtsv_nopivot_pcr_shared_kernelILj256EdEEviiiPKT0_S3_S3_PS1_.kd
    .uniform_work_group_size: 1
    .uses_dynamic_stack: false
    .vgpr_count:     37
    .vgpr_spill_count: 0
    .wavefront_size: 64
  - .args:
      - .offset:         0
        .size:           4
        .value_kind:     by_value
      - .offset:         4
        .size:           4
        .value_kind:     by_value
      - .offset:         8
        .size:           4
        .value_kind:     by_value
      - .actual_access:  read_only
        .address_space:  global
        .offset:         16
        .size:           8
        .value_kind:     global_buffer
      - .actual_access:  read_only
        .address_space:  global
        .offset:         24
        .size:           8
        .value_kind:     global_buffer
      - .actual_access:  read_only
        .address_space:  global
        .offset:         32
        .size:           8
        .value_kind:     global_buffer
      - .address_space:  global
        .offset:         40
        .size:           8
        .value_kind:     global_buffer
    .group_segment_fixed_size: 20480
    .kernarg_segment_align: 8
    .kernarg_segment_size: 48
    .language:       OpenCL C
    .language_version:
      - 2
      - 0
    .max_flat_workgroup_size: 512
    .name:           _ZN9rocsparseL30gtsv_nopivot_pcr_shared_kernelILj512EdEEviiiPKT0_S3_S3_PS1_
    .private_segment_fixed_size: 0
    .sgpr_count:     16
    .sgpr_spill_count: 0
    .symbol:         _ZN9rocsparseL30gtsv_nopivot_pcr_shared_kernelILj512EdEEviiiPKT0_S3_S3_PS1_.kd
    .uniform_work_group_size: 1
    .uses_dynamic_stack: false
    .vgpr_count:     37
    .vgpr_spill_count: 0
    .wavefront_size: 64
  - .args:
      - .offset:         0
        .size:           4
        .value_kind:     by_value
      - .offset:         4
        .size:           4
        .value_kind:     by_value
      - .offset:         8
        .size:           4
        .value_kind:     by_value
      - .offset:         12
        .size:           4
        .value_kind:     by_value
      - .actual_access:  read_only
        .address_space:  global
        .offset:         16
        .size:           8
        .value_kind:     global_buffer
      - .actual_access:  read_only
        .address_space:  global
        .offset:         24
        .size:           8
        .value_kind:     global_buffer
      - .actual_access:  read_only
        .address_space:  global
        .offset:         32
        .size:           8
        .value_kind:     global_buffer
      - .actual_access:  read_only
        .address_space:  global
        .offset:         40
        .size:           8
        .value_kind:     global_buffer
      - .actual_access:  write_only
        .address_space:  global
        .offset:         48
        .size:           8
        .value_kind:     global_buffer
      - .actual_access:  write_only
        .address_space:  global
        .offset:         56
        .size:           8
        .value_kind:     global_buffer
      - .actual_access:  write_only
        .address_space:  global
        .offset:         64
        .size:           8
        .value_kind:     global_buffer
      - .actual_access:  write_only
        .address_space:  global
        .offset:         72
        .size:           8
        .value_kind:     global_buffer
    .group_segment_fixed_size: 0
    .kernarg_segment_align: 8
    .kernarg_segment_size: 80
    .language:       OpenCL C
    .language_version:
      - 2
      - 0
    .max_flat_workgroup_size: 256
    .name:           _ZN9rocsparseL37gtsv_nopivot_pcr_pow2_stage1_n_kernelILj256EdEEviiiiPKT0_S3_S3_S3_PS1_S4_S4_S4_
    .private_segment_fixed_size: 0
    .sgpr_count:     31
    .sgpr_spill_count: 0
    .symbol:         _ZN9rocsparseL37gtsv_nopivot_pcr_pow2_stage1_n_kernelILj256EdEEviiiiPKT0_S3_S3_S3_PS1_S4_S4_S4_.kd
    .uniform_work_group_size: 1
    .uses_dynamic_stack: false
    .vgpr_count:     23
    .vgpr_spill_count: 0
    .wavefront_size: 64
  - .args:
      - .offset:         0
        .size:           4
        .value_kind:     by_value
      - .offset:         4
        .size:           4
        .value_kind:     by_value
      - .offset:         8
        .size:           4
        .value_kind:     by_value
      - .actual_access:  read_only
        .address_space:  global
        .offset:         16
        .size:           8
        .value_kind:     global_buffer
      - .actual_access:  read_only
        .address_space:  global
        .offset:         24
        .size:           8
        .value_kind:     global_buffer
      - .actual_access:  read_only
        .address_space:  global
        .offset:         32
        .size:           8
        .value_kind:     global_buffer
      - .actual_access:  read_only
        .address_space:  global
        .offset:         40
        .size:           8
        .value_kind:     global_buffer
      - .actual_access:  write_only
        .address_space:  global
        .offset:         48
        .size:           8
        .value_kind:     global_buffer
      - .offset:         56
        .size:           4
        .value_kind:     hidden_block_count_x
      - .offset:         60
        .size:           4
        .value_kind:     hidden_block_count_y
      - .offset:         64
        .size:           4
        .value_kind:     hidden_block_count_z
      - .offset:         68
        .size:           2
        .value_kind:     hidden_group_size_x
      - .offset:         70
        .size:           2
        .value_kind:     hidden_group_size_y
      - .offset:         72
        .size:           2
        .value_kind:     hidden_group_size_z
      - .offset:         74
        .size:           2
        .value_kind:     hidden_remainder_x
      - .offset:         76
        .size:           2
        .value_kind:     hidden_remainder_y
      - .offset:         78
        .size:           2
        .value_kind:     hidden_remainder_z
      - .offset:         96
        .size:           8
        .value_kind:     hidden_global_offset_x
      - .offset:         104
        .size:           8
        .value_kind:     hidden_global_offset_y
      - .offset:         112
        .size:           8
        .value_kind:     hidden_global_offset_z
      - .offset:         120
        .size:           2
        .value_kind:     hidden_grid_dims
    .group_segment_fixed_size: 20480
    .kernarg_segment_align: 8
    .kernarg_segment_size: 312
    .language:       OpenCL C
    .language_version:
      - 2
      - 0
    .max_flat_workgroup_size: 256
    .name:           _ZN9rocsparseL34gtsv_nopivot_cr_pow2_stage2_kernelILj256EdEEviiiPKT0_S3_S3_S3_PS1_
    .private_segment_fixed_size: 0
    .sgpr_count:     30
    .sgpr_spill_count: 0
    .symbol:         _ZN9rocsparseL34gtsv_nopivot_cr_pow2_stage2_kernelILj256EdEEviiiPKT0_S3_S3_S3_PS1_.kd
    .uniform_work_group_size: 1
    .uses_dynamic_stack: false
    .vgpr_count:     43
    .vgpr_spill_count: 0
    .wavefront_size: 64
  - .args:
      - .offset:         0
        .size:           4
        .value_kind:     by_value
      - .offset:         4
        .size:           4
        .value_kind:     by_value
      - .offset:         8
        .size:           4
        .value_kind:     by_value
      - .offset:         12
        .size:           4
        .value_kind:     by_value
      - .actual_access:  read_only
        .address_space:  global
        .offset:         16
        .size:           8
        .value_kind:     global_buffer
      - .actual_access:  read_only
        .address_space:  global
        .offset:         24
        .size:           8
        .value_kind:     global_buffer
      - .actual_access:  read_only
        .address_space:  global
        .offset:         32
        .size:           8
        .value_kind:     global_buffer
      - .actual_access:  read_only
        .address_space:  global
        .offset:         40
        .size:           8
        .value_kind:     global_buffer
      - .actual_access:  write_only
        .address_space:  global
        .offset:         48
        .size:           8
        .value_kind:     global_buffer
      - .actual_access:  write_only
        .address_space:  global
        .offset:         56
        .size:           8
        .value_kind:     global_buffer
      - .actual_access:  write_only
        .address_space:  global
        .offset:         64
        .size:           8
        .value_kind:     global_buffer
      - .actual_access:  write_only
        .address_space:  global
        .offset:         72
        .size:           8
        .value_kind:     global_buffer
    .group_segment_fixed_size: 0
    .kernarg_segment_align: 8
    .kernarg_segment_size: 80
    .language:       OpenCL C
    .language_version:
      - 2
      - 0
    .max_flat_workgroup_size: 256
    .name:           _ZN9rocsparseL32gtsv_nopivot_pcr_stage1_n_kernelILj256EdEEviiiiPKT0_S3_S3_S3_PS1_S4_S4_S4_
    .private_segment_fixed_size: 0
    .sgpr_count:     28
    .sgpr_spill_count: 0
    .symbol:         _ZN9rocsparseL32gtsv_nopivot_pcr_stage1_n_kernelILj256EdEEviiiiPKT0_S3_S3_S3_PS1_S4_S4_S4_.kd
    .uniform_work_group_size: 1
    .uses_dynamic_stack: false
    .vgpr_count:     21
    .vgpr_spill_count: 0
    .wavefront_size: 64
  - .args:
      - .offset:         0
        .size:           4
        .value_kind:     by_value
      - .offset:         4
        .size:           4
        .value_kind:     by_value
      - .offset:         8
        .size:           4
        .value_kind:     by_value
      - .actual_access:  read_only
        .address_space:  global
        .offset:         16
        .size:           8
        .value_kind:     global_buffer
      - .actual_access:  read_only
        .address_space:  global
        .offset:         24
        .size:           8
        .value_kind:     global_buffer
      - .actual_access:  read_only
        .address_space:  global
        .offset:         32
        .size:           8
        .value_kind:     global_buffer
      - .actual_access:  read_only
        .address_space:  global
        .offset:         40
        .size:           8
        .value_kind:     global_buffer
      - .actual_access:  write_only
        .address_space:  global
        .offset:         48
        .size:           8
        .value_kind:     global_buffer
      - .offset:         56
        .size:           4
        .value_kind:     hidden_block_count_x
      - .offset:         60
        .size:           4
        .value_kind:     hidden_block_count_y
      - .offset:         64
        .size:           4
        .value_kind:     hidden_block_count_z
      - .offset:         68
        .size:           2
        .value_kind:     hidden_group_size_x
      - .offset:         70
        .size:           2
        .value_kind:     hidden_group_size_y
      - .offset:         72
        .size:           2
        .value_kind:     hidden_group_size_z
      - .offset:         74
        .size:           2
        .value_kind:     hidden_remainder_x
      - .offset:         76
        .size:           2
        .value_kind:     hidden_remainder_y
      - .offset:         78
        .size:           2
        .value_kind:     hidden_remainder_z
      - .offset:         96
        .size:           8
        .value_kind:     hidden_global_offset_x
      - .offset:         104
        .size:           8
        .value_kind:     hidden_global_offset_y
      - .offset:         112
        .size:           8
        .value_kind:     hidden_global_offset_z
      - .offset:         120
        .size:           2
        .value_kind:     hidden_grid_dims
    .group_segment_fixed_size: 20480
    .kernarg_segment_align: 8
    .kernarg_segment_size: 312
    .language:       OpenCL C
    .language_version:
      - 2
      - 0
    .max_flat_workgroup_size: 512
    .name:           _ZN9rocsparseL30gtsv_nopivot_pcr_stage2_kernelILj512EdEEviiiPKT0_S3_S3_S3_PS1_
    .private_segment_fixed_size: 0
    .sgpr_count:     22
    .sgpr_spill_count: 0
    .symbol:         _ZN9rocsparseL30gtsv_nopivot_pcr_stage2_kernelILj512EdEEviiiPKT0_S3_S3_S3_PS1_.kd
    .uniform_work_group_size: 1
    .uses_dynamic_stack: false
    .vgpr_count:     35
    .vgpr_spill_count: 0
    .wavefront_size: 64
  - .args:
      - .offset:         0
        .size:           4
        .value_kind:     by_value
      - .offset:         4
        .size:           4
        .value_kind:     by_value
      - .offset:         8
        .size:           4
        .value_kind:     by_value
      - .offset:         12
        .size:           4
        .value_kind:     by_value
      - .actual_access:  read_only
        .address_space:  global
        .offset:         16
        .size:           8
        .value_kind:     global_buffer
      - .actual_access:  read_only
        .address_space:  global
        .offset:         24
        .size:           8
        .value_kind:     global_buffer
      - .actual_access:  read_only
        .address_space:  global
        .offset:         32
        .size:           8
        .value_kind:     global_buffer
      - .actual_access:  read_only
        .address_space:  global
        .offset:         40
        .size:           8
        .value_kind:     global_buffer
      - .actual_access:  write_only
        .address_space:  global
        .offset:         48
        .size:           8
        .value_kind:     global_buffer
      - .actual_access:  write_only
        .address_space:  global
        .offset:         56
        .size:           8
        .value_kind:     global_buffer
      - .actual_access:  write_only
        .address_space:  global
        .offset:         64
        .size:           8
        .value_kind:     global_buffer
      - .actual_access:  write_only
        .address_space:  global
        .offset:         72
        .size:           8
        .value_kind:     global_buffer
    .group_segment_fixed_size: 0
    .kernarg_segment_align: 8
    .kernarg_segment_size: 80
    .language:       OpenCL C
    .language_version:
      - 2
      - 0
    .max_flat_workgroup_size: 256
    .name:           _ZN9rocsparseL35gtsv_nopivot_pcr_pow2_stage1_kernelILj256EdEEviiiiPKT0_S3_S3_S3_PS1_S4_S4_S4_
    .private_segment_fixed_size: 0
    .sgpr_count:     24
    .sgpr_spill_count: 0
    .symbol:         _ZN9rocsparseL35gtsv_nopivot_pcr_pow2_stage1_kernelILj256EdEEviiiiPKT0_S3_S3_S3_PS1_S4_S4_S4_.kd
    .uniform_work_group_size: 1
    .uses_dynamic_stack: false
    .vgpr_count:     24
    .vgpr_spill_count: 0
    .wavefront_size: 64
  - .args:
      - .offset:         0
        .size:           4
        .value_kind:     by_value
      - .offset:         4
        .size:           4
        .value_kind:     by_value
      - .offset:         8
        .size:           4
        .value_kind:     by_value
      - .offset:         12
        .size:           4
        .value_kind:     by_value
      - .actual_access:  read_only
        .address_space:  global
        .offset:         16
        .size:           8
        .value_kind:     global_buffer
      - .actual_access:  read_only
        .address_space:  global
        .offset:         24
        .size:           8
        .value_kind:     global_buffer
      - .actual_access:  read_only
        .address_space:  global
        .offset:         32
        .size:           8
        .value_kind:     global_buffer
      - .actual_access:  read_only
        .address_space:  global
        .offset:         40
        .size:           8
        .value_kind:     global_buffer
      - .actual_access:  read_only
        .address_space:  global
        .offset:         48
        .size:           8
        .value_kind:     global_buffer
      - .actual_access:  read_only
        .address_space:  global
        .offset:         56
        .size:           8
        .value_kind:     global_buffer
      - .address_space:  global
        .offset:         64
        .size:           8
        .value_kind:     global_buffer
      - .address_space:  global
        .offset:         72
        .size:           8
        .value_kind:     global_buffer
      - .address_space:  global
        .offset:         80
        .size:           8
        .value_kind:     global_buffer
    .group_segment_fixed_size: 0
    .kernarg_segment_align: 8
    .kernarg_segment_size: 88
    .language:       OpenCL C
    .language_version:
      - 2
      - 0
    .max_flat_workgroup_size: 256
    .name:           _ZN9rocsparseL38gtsv_nopivot_thomas_pow2_stage2_kernelILj256ELj512EdEEviiiiPKT1_S3_S3_S3_PS1_S4_S4_S4_S4_
    .private_segment_fixed_size: 0
    .sgpr_count:     28
    .sgpr_spill_count: 0
    .symbol:         _ZN9rocsparseL38gtsv_nopivot_thomas_pow2_stage2_kernelILj256ELj512EdEEviiiiPKT1_S3_S3_S3_PS1_S4_S4_S4_S4_.kd
    .uniform_work_group_size: 1
    .uses_dynamic_stack: false
    .vgpr_count:     32
    .vgpr_spill_count: 0
    .wavefront_size: 64
  - .args:
      - .offset:         0
        .size:           4
        .value_kind:     by_value
      - .offset:         4
        .size:           4
        .value_kind:     by_value
      - .offset:         8
        .size:           4
        .value_kind:     by_value
      - .offset:         12
        .size:           4
        .value_kind:     by_value
      - .actual_access:  read_only
        .address_space:  global
        .offset:         16
        .size:           8
        .value_kind:     global_buffer
      - .actual_access:  read_only
        .address_space:  global
        .offset:         24
        .size:           8
        .value_kind:     global_buffer
      - .actual_access:  read_only
        .address_space:  global
        .offset:         32
        .size:           8
        .value_kind:     global_buffer
      - .actual_access:  read_only
        .address_space:  global
        .offset:         40
        .size:           8
        .value_kind:     global_buffer
      - .actual_access:  write_only
        .address_space:  global
        .offset:         48
        .size:           8
        .value_kind:     global_buffer
      - .actual_access:  write_only
        .address_space:  global
        .offset:         56
        .size:           8
        .value_kind:     global_buffer
      - .actual_access:  write_only
        .address_space:  global
        .offset:         64
        .size:           8
        .value_kind:     global_buffer
      - .actual_access:  write_only
        .address_space:  global
        .offset:         72
        .size:           8
        .value_kind:     global_buffer
    .group_segment_fixed_size: 0
    .kernarg_segment_align: 8
    .kernarg_segment_size: 80
    .language:       OpenCL C
    .language_version:
      - 2
      - 0
    .max_flat_workgroup_size: 256
    .name:           _ZN9rocsparseL30gtsv_nopivot_pcr_stage1_kernelILj256EdEEviiiiPKT0_S3_S3_S3_PS1_S4_S4_S4_
    .private_segment_fixed_size: 0
    .sgpr_count:     24
    .sgpr_spill_count: 0
    .symbol:         _ZN9rocsparseL30gtsv_nopivot_pcr_stage1_kernelILj256EdEEviiiiPKT0_S3_S3_S3_PS1_S4_S4_S4_.kd
    .uniform_work_group_size: 1
    .uses_dynamic_stack: false
    .vgpr_count:     24
    .vgpr_spill_count: 0
    .wavefront_size: 64
  - .args:
      - .offset:         0
        .size:           4
        .value_kind:     by_value
      - .offset:         4
        .size:           4
        .value_kind:     by_value
      - .offset:         8
        .size:           4
        .value_kind:     by_value
      - .offset:         12
        .size:           4
        .value_kind:     by_value
      - .actual_access:  read_only
        .address_space:  global
        .offset:         16
        .size:           8
        .value_kind:     global_buffer
      - .actual_access:  read_only
        .address_space:  global
        .offset:         24
        .size:           8
        .value_kind:     global_buffer
      - .actual_access:  read_only
        .address_space:  global
        .offset:         32
        .size:           8
        .value_kind:     global_buffer
      - .actual_access:  read_only
        .address_space:  global
        .offset:         40
        .size:           8
        .value_kind:     global_buffer
      - .actual_access:  read_only
        .address_space:  global
        .offset:         48
        .size:           8
        .value_kind:     global_buffer
      - .actual_access:  read_only
        .address_space:  global
        .offset:         56
        .size:           8
        .value_kind:     global_buffer
      - .address_space:  global
        .offset:         64
        .size:           8
        .value_kind:     global_buffer
      - .address_space:  global
        .offset:         72
        .size:           8
        .value_kind:     global_buffer
      - .address_space:  global
        .offset:         80
        .size:           8
        .value_kind:     global_buffer
    .group_segment_fixed_size: 0
    .kernarg_segment_align: 8
    .kernarg_segment_size: 88
    .language:       OpenCL C
    .language_version:
      - 2
      - 0
    .max_flat_workgroup_size: 256
    .name:           _ZN9rocsparseL33gtsv_nopivot_thomas_stage2_kernelILj256EdEEviiiiPKT0_S3_S3_S3_PS1_S4_S4_S4_S4_
    .private_segment_fixed_size: 0
    .sgpr_count:     30
    .sgpr_spill_count: 0
    .symbol:         _ZN9rocsparseL33gtsv_nopivot_thomas_stage2_kernelILj256EdEEviiiiPKT0_S3_S3_S3_PS1_S4_S4_S4_S4_.kd
    .uniform_work_group_size: 1
    .uses_dynamic_stack: false
    .vgpr_count:     31
    .vgpr_spill_count: 0
    .wavefront_size: 64
  - .args:
      - .offset:         0
        .size:           4
        .value_kind:     by_value
      - .offset:         4
        .size:           4
        .value_kind:     by_value
      - .offset:         8
        .size:           4
        .value_kind:     by_value
      - .actual_access:  read_only
        .address_space:  global
        .offset:         16
        .size:           8
        .value_kind:     global_buffer
      - .actual_access:  read_only
        .address_space:  global
        .offset:         24
        .size:           8
        .value_kind:     global_buffer
      - .actual_access:  read_only
        .address_space:  global
        .offset:         32
        .size:           8
        .value_kind:     global_buffer
      - .address_space:  global
        .offset:         40
        .size:           8
        .value_kind:     global_buffer
    .group_segment_fixed_size: 152
    .kernarg_segment_align: 8
    .kernarg_segment_size: 48
    .language:       OpenCL C
    .language_version:
      - 2
      - 0
    .max_flat_workgroup_size: 2
    .name:           _ZN9rocsparseL35gtsv_nopivot_pcr_pow2_shared_kernelILj2E21rocsparse_complex_numIfEEEviiiPKT0_S5_S5_PS3_
    .private_segment_fixed_size: 0
    .sgpr_count:     20
    .sgpr_spill_count: 0
    .symbol:         _ZN9rocsparseL35gtsv_nopivot_pcr_pow2_shared_kernelILj2E21rocsparse_complex_numIfEEEviiiPKT0_S5_S5_PS3_.kd
    .uniform_work_group_size: 1
    .uses_dynamic_stack: false
    .vgpr_count:     22
    .vgpr_spill_count: 0
    .wavefront_size: 64
  - .args:
      - .offset:         0
        .size:           4
        .value_kind:     by_value
      - .offset:         4
        .size:           4
        .value_kind:     by_value
      - .offset:         8
        .size:           4
        .value_kind:     by_value
      - .actual_access:  read_only
        .address_space:  global
        .offset:         16
        .size:           8
        .value_kind:     global_buffer
      - .actual_access:  read_only
        .address_space:  global
        .offset:         24
        .size:           8
        .value_kind:     global_buffer
      - .actual_access:  read_only
        .address_space:  global
        .offset:         32
        .size:           8
        .value_kind:     global_buffer
      - .address_space:  global
        .offset:         40
        .size:           8
        .value_kind:     global_buffer
    .group_segment_fixed_size: 232
    .kernarg_segment_align: 8
    .kernarg_segment_size: 48
    .language:       OpenCL C
    .language_version:
      - 2
      - 0
    .max_flat_workgroup_size: 4
    .name:           _ZN9rocsparseL35gtsv_nopivot_pcr_pow2_shared_kernelILj4E21rocsparse_complex_numIfEEEviiiPKT0_S5_S5_PS3_
    .private_segment_fixed_size: 0
    .sgpr_count:     20
    .sgpr_spill_count: 0
    .symbol:         _ZN9rocsparseL35gtsv_nopivot_pcr_pow2_shared_kernelILj4E21rocsparse_complex_numIfEEEviiiPKT0_S5_S5_PS3_.kd
    .uniform_work_group_size: 1
    .uses_dynamic_stack: false
    .vgpr_count:     26
    .vgpr_spill_count: 0
    .wavefront_size: 64
  - .args:
      - .offset:         0
        .size:           4
        .value_kind:     by_value
      - .offset:         4
        .size:           4
        .value_kind:     by_value
      - .offset:         8
        .size:           4
        .value_kind:     by_value
      - .actual_access:  read_only
        .address_space:  global
        .offset:         16
        .size:           8
        .value_kind:     global_buffer
      - .actual_access:  read_only
        .address_space:  global
        .offset:         24
        .size:           8
        .value_kind:     global_buffer
      - .actual_access:  read_only
        .address_space:  global
        .offset:         32
        .size:           8
        .value_kind:     global_buffer
      - .address_space:  global
        .offset:         40
        .size:           8
        .value_kind:     global_buffer
    .group_segment_fixed_size: 392
    .kernarg_segment_align: 8
    .kernarg_segment_size: 48
    .language:       OpenCL C
    .language_version:
      - 2
      - 0
    .max_flat_workgroup_size: 8
    .name:           _ZN9rocsparseL35gtsv_nopivot_pcr_pow2_shared_kernelILj8E21rocsparse_complex_numIfEEEviiiPKT0_S5_S5_PS3_
    .private_segment_fixed_size: 0
    .sgpr_count:     20
    .sgpr_spill_count: 0
    .symbol:         _ZN9rocsparseL35gtsv_nopivot_pcr_pow2_shared_kernelILj8E21rocsparse_complex_numIfEEEviiiPKT0_S5_S5_PS3_.kd
    .uniform_work_group_size: 1
    .uses_dynamic_stack: false
    .vgpr_count:     26
    .vgpr_spill_count: 0
    .wavefront_size: 64
  - .args:
      - .offset:         0
        .size:           4
        .value_kind:     by_value
      - .offset:         4
        .size:           4
        .value_kind:     by_value
      - .offset:         8
        .size:           4
        .value_kind:     by_value
      - .actual_access:  read_only
        .address_space:  global
        .offset:         16
        .size:           8
        .value_kind:     global_buffer
      - .actual_access:  read_only
        .address_space:  global
        .offset:         24
        .size:           8
        .value_kind:     global_buffer
      - .actual_access:  read_only
        .address_space:  global
        .offset:         32
        .size:           8
        .value_kind:     global_buffer
      - .address_space:  global
        .offset:         40
        .size:           8
        .value_kind:     global_buffer
    .group_segment_fixed_size: 712
    .kernarg_segment_align: 8
    .kernarg_segment_size: 48
    .language:       OpenCL C
    .language_version:
      - 2
      - 0
    .max_flat_workgroup_size: 16
    .name:           _ZN9rocsparseL35gtsv_nopivot_pcr_pow2_shared_kernelILj16E21rocsparse_complex_numIfEEEviiiPKT0_S5_S5_PS3_
    .private_segment_fixed_size: 0
    .sgpr_count:     20
    .sgpr_spill_count: 0
    .symbol:         _ZN9rocsparseL35gtsv_nopivot_pcr_pow2_shared_kernelILj16E21rocsparse_complex_numIfEEEviiiPKT0_S5_S5_PS3_.kd
    .uniform_work_group_size: 1
    .uses_dynamic_stack: false
    .vgpr_count:     26
    .vgpr_spill_count: 0
    .wavefront_size: 64
  - .args:
      - .offset:         0
        .size:           4
        .value_kind:     by_value
      - .offset:         4
        .size:           4
        .value_kind:     by_value
      - .offset:         8
        .size:           4
        .value_kind:     by_value
      - .actual_access:  read_only
        .address_space:  global
        .offset:         16
        .size:           8
        .value_kind:     global_buffer
      - .actual_access:  read_only
        .address_space:  global
        .offset:         24
        .size:           8
        .value_kind:     global_buffer
      - .actual_access:  read_only
        .address_space:  global
        .offset:         32
        .size:           8
        .value_kind:     global_buffer
      - .address_space:  global
        .offset:         40
        .size:           8
        .value_kind:     global_buffer
    .group_segment_fixed_size: 1352
    .kernarg_segment_align: 8
    .kernarg_segment_size: 48
    .language:       OpenCL C
    .language_version:
      - 2
      - 0
    .max_flat_workgroup_size: 32
    .name:           _ZN9rocsparseL35gtsv_nopivot_pcr_pow2_shared_kernelILj32E21rocsparse_complex_numIfEEEviiiPKT0_S5_S5_PS3_
    .private_segment_fixed_size: 0
    .sgpr_count:     20
    .sgpr_spill_count: 0
    .symbol:         _ZN9rocsparseL35gtsv_nopivot_pcr_pow2_shared_kernelILj32E21rocsparse_complex_numIfEEEviiiPKT0_S5_S5_PS3_.kd
    .uniform_work_group_size: 1
    .uses_dynamic_stack: false
    .vgpr_count:     26
    .vgpr_spill_count: 0
    .wavefront_size: 64
  - .args:
      - .offset:         0
        .size:           4
        .value_kind:     by_value
      - .offset:         4
        .size:           4
        .value_kind:     by_value
      - .offset:         8
        .size:           4
        .value_kind:     by_value
      - .actual_access:  read_only
        .address_space:  global
        .offset:         16
        .size:           8
        .value_kind:     global_buffer
      - .actual_access:  read_only
        .address_space:  global
        .offset:         24
        .size:           8
        .value_kind:     global_buffer
      - .actual_access:  read_only
        .address_space:  global
        .offset:         32
        .size:           8
        .value_kind:     global_buffer
      - .address_space:  global
        .offset:         40
        .size:           8
        .value_kind:     global_buffer
    .group_segment_fixed_size: 2632
    .kernarg_segment_align: 8
    .kernarg_segment_size: 48
    .language:       OpenCL C
    .language_version:
      - 2
      - 0
    .max_flat_workgroup_size: 64
    .name:           _ZN9rocsparseL35gtsv_nopivot_pcr_pow2_shared_kernelILj64E21rocsparse_complex_numIfEEEviiiPKT0_S5_S5_PS3_
    .private_segment_fixed_size: 0
    .sgpr_count:     20
    .sgpr_spill_count: 0
    .symbol:         _ZN9rocsparseL35gtsv_nopivot_pcr_pow2_shared_kernelILj64E21rocsparse_complex_numIfEEEviiiPKT0_S5_S5_PS3_.kd
    .uniform_work_group_size: 1
    .uses_dynamic_stack: false
    .vgpr_count:     36
    .vgpr_spill_count: 0
    .wavefront_size: 64
  - .args:
      - .offset:         0
        .size:           4
        .value_kind:     by_value
      - .offset:         4
        .size:           4
        .value_kind:     by_value
      - .offset:         8
        .size:           4
        .value_kind:     by_value
      - .actual_access:  read_only
        .address_space:  global
        .offset:         16
        .size:           8
        .value_kind:     global_buffer
      - .actual_access:  read_only
        .address_space:  global
        .offset:         24
        .size:           8
        .value_kind:     global_buffer
      - .actual_access:  read_only
        .address_space:  global
        .offset:         32
        .size:           8
        .value_kind:     global_buffer
      - .address_space:  global
        .offset:         40
        .size:           8
        .value_kind:     global_buffer
    .group_segment_fixed_size: 7680
    .kernarg_segment_align: 8
    .kernarg_segment_size: 48
    .language:       OpenCL C
    .language_version:
      - 2
      - 0
    .max_flat_workgroup_size: 64
    .name:           _ZN9rocsparseL37gtsv_nopivot_crpcr_pow2_shared_kernelILj64ELj64E21rocsparse_complex_numIfEEEviiiPKT1_S5_S5_PS3_
    .private_segment_fixed_size: 0
    .sgpr_count:     20
    .sgpr_spill_count: 0
    .symbol:         _ZN9rocsparseL37gtsv_nopivot_crpcr_pow2_shared_kernelILj64ELj64E21rocsparse_complex_numIfEEEviiiPKT1_S5_S5_PS3_.kd
    .uniform_work_group_size: 1
    .uses_dynamic_stack: false
    .vgpr_count:     38
    .vgpr_spill_count: 0
    .wavefront_size: 64
  - .args:
      - .offset:         0
        .size:           4
        .value_kind:     by_value
      - .offset:         4
        .size:           4
        .value_kind:     by_value
      - .offset:         8
        .size:           4
        .value_kind:     by_value
      - .actual_access:  read_only
        .address_space:  global
        .offset:         16
        .size:           8
        .value_kind:     global_buffer
      - .actual_access:  read_only
        .address_space:  global
        .offset:         24
        .size:           8
        .value_kind:     global_buffer
      - .actual_access:  read_only
        .address_space:  global
        .offset:         32
        .size:           8
        .value_kind:     global_buffer
      - .address_space:  global
        .offset:         40
        .size:           8
        .value_kind:     global_buffer
    .group_segment_fixed_size: 12800
    .kernarg_segment_align: 8
    .kernarg_segment_size: 48
    .language:       OpenCL C
    .language_version:
      - 2
      - 0
    .max_flat_workgroup_size: 128
    .name:           _ZN9rocsparseL37gtsv_nopivot_crpcr_pow2_shared_kernelILj128ELj64E21rocsparse_complex_numIfEEEviiiPKT1_S5_S5_PS3_
    .private_segment_fixed_size: 0
    .sgpr_count:     20
    .sgpr_spill_count: 0
    .symbol:         _ZN9rocsparseL37gtsv_nopivot_crpcr_pow2_shared_kernelILj128ELj64E21rocsparse_complex_numIfEEEviiiPKT1_S5_S5_PS3_.kd
    .uniform_work_group_size: 1
    .uses_dynamic_stack: false
    .vgpr_count:     38
    .vgpr_spill_count: 0
    .wavefront_size: 64
  - .args:
      - .offset:         0
        .size:           4
        .value_kind:     by_value
      - .offset:         4
        .size:           4
        .value_kind:     by_value
      - .offset:         8
        .size:           4
        .value_kind:     by_value
      - .actual_access:  read_only
        .address_space:  global
        .offset:         16
        .size:           8
        .value_kind:     global_buffer
      - .actual_access:  read_only
        .address_space:  global
        .offset:         24
        .size:           8
        .value_kind:     global_buffer
      - .actual_access:  read_only
        .address_space:  global
        .offset:         32
        .size:           8
        .value_kind:     global_buffer
      - .address_space:  global
        .offset:         40
        .size:           8
        .value_kind:     global_buffer
    .group_segment_fixed_size: 23040
    .kernarg_segment_align: 8
    .kernarg_segment_size: 48
    .language:       OpenCL C
    .language_version:
      - 2
      - 0
    .max_flat_workgroup_size: 256
    .name:           _ZN9rocsparseL37gtsv_nopivot_crpcr_pow2_shared_kernelILj256ELj64E21rocsparse_complex_numIfEEEviiiPKT1_S5_S5_PS3_
    .private_segment_fixed_size: 0
    .sgpr_count:     20
    .sgpr_spill_count: 0
    .symbol:         _ZN9rocsparseL37gtsv_nopivot_crpcr_pow2_shared_kernelILj256ELj64E21rocsparse_complex_numIfEEEviiiPKT1_S5_S5_PS3_.kd
    .uniform_work_group_size: 1
    .uses_dynamic_stack: false
    .vgpr_count:     38
    .vgpr_spill_count: 0
    .wavefront_size: 64
  - .args:
      - .offset:         0
        .size:           4
        .value_kind:     by_value
      - .offset:         4
        .size:           4
        .value_kind:     by_value
      - .offset:         8
        .size:           4
        .value_kind:     by_value
      - .actual_access:  read_only
        .address_space:  global
        .offset:         16
        .size:           8
        .value_kind:     global_buffer
      - .actual_access:  read_only
        .address_space:  global
        .offset:         24
        .size:           8
        .value_kind:     global_buffer
      - .actual_access:  read_only
        .address_space:  global
        .offset:         32
        .size:           8
        .value_kind:     global_buffer
      - .address_space:  global
        .offset:         40
        .size:           8
        .value_kind:     global_buffer
    .group_segment_fixed_size: 160
    .kernarg_segment_align: 8
    .kernarg_segment_size: 48
    .language:       OpenCL C
    .language_version:
      - 2
      - 0
    .max_flat_workgroup_size: 4
    .name:           _ZN9rocsparseL30gtsv_nopivot_pcr_shared_kernelILj4E21rocsparse_complex_numIfEEEviiiPKT0_S5_S5_PS3_
    .private_segment_fixed_size: 0
    .sgpr_count:     16
    .sgpr_spill_count: 0
    .symbol:         _ZN9rocsparseL30gtsv_nopivot_pcr_shared_kernelILj4E21rocsparse_complex_numIfEEEviiiPKT0_S5_S5_PS3_.kd
    .uniform_work_group_size: 1
    .uses_dynamic_stack: false
    .vgpr_count:     23
    .vgpr_spill_count: 0
    .wavefront_size: 64
  - .args:
      - .offset:         0
        .size:           4
        .value_kind:     by_value
      - .offset:         4
        .size:           4
        .value_kind:     by_value
      - .offset:         8
        .size:           4
        .value_kind:     by_value
      - .actual_access:  read_only
        .address_space:  global
        .offset:         16
        .size:           8
        .value_kind:     global_buffer
      - .actual_access:  read_only
        .address_space:  global
        .offset:         24
        .size:           8
        .value_kind:     global_buffer
      - .actual_access:  read_only
        .address_space:  global
        .offset:         32
        .size:           8
        .value_kind:     global_buffer
      - .address_space:  global
        .offset:         40
        .size:           8
        .value_kind:     global_buffer
    .group_segment_fixed_size: 320
    .kernarg_segment_align: 8
    .kernarg_segment_size: 48
    .language:       OpenCL C
    .language_version:
      - 2
      - 0
    .max_flat_workgroup_size: 8
    .name:           _ZN9rocsparseL30gtsv_nopivot_pcr_shared_kernelILj8E21rocsparse_complex_numIfEEEviiiPKT0_S5_S5_PS3_
    .private_segment_fixed_size: 0
    .sgpr_count:     16
    .sgpr_spill_count: 0
    .symbol:         _ZN9rocsparseL30gtsv_nopivot_pcr_shared_kernelILj8E21rocsparse_complex_numIfEEEviiiPKT0_S5_S5_PS3_.kd
    .uniform_work_group_size: 1
    .uses_dynamic_stack: false
    .vgpr_count:     23
    .vgpr_spill_count: 0
    .wavefront_size: 64
  - .args:
      - .offset:         0
        .size:           4
        .value_kind:     by_value
      - .offset:         4
        .size:           4
        .value_kind:     by_value
      - .offset:         8
        .size:           4
        .value_kind:     by_value
      - .actual_access:  read_only
        .address_space:  global
        .offset:         16
        .size:           8
        .value_kind:     global_buffer
      - .actual_access:  read_only
        .address_space:  global
        .offset:         24
        .size:           8
        .value_kind:     global_buffer
      - .actual_access:  read_only
        .address_space:  global
        .offset:         32
        .size:           8
        .value_kind:     global_buffer
      - .address_space:  global
        .offset:         40
        .size:           8
        .value_kind:     global_buffer
    .group_segment_fixed_size: 640
    .kernarg_segment_align: 8
    .kernarg_segment_size: 48
    .language:       OpenCL C
    .language_version:
      - 2
      - 0
    .max_flat_workgroup_size: 16
    .name:           _ZN9rocsparseL30gtsv_nopivot_pcr_shared_kernelILj16E21rocsparse_complex_numIfEEEviiiPKT0_S5_S5_PS3_
    .private_segment_fixed_size: 0
    .sgpr_count:     16
    .sgpr_spill_count: 0
    .symbol:         _ZN9rocsparseL30gtsv_nopivot_pcr_shared_kernelILj16E21rocsparse_complex_numIfEEEviiiPKT0_S5_S5_PS3_.kd
    .uniform_work_group_size: 1
    .uses_dynamic_stack: false
    .vgpr_count:     23
    .vgpr_spill_count: 0
    .wavefront_size: 64
  - .args:
      - .offset:         0
        .size:           4
        .value_kind:     by_value
      - .offset:         4
        .size:           4
        .value_kind:     by_value
      - .offset:         8
        .size:           4
        .value_kind:     by_value
      - .actual_access:  read_only
        .address_space:  global
        .offset:         16
        .size:           8
        .value_kind:     global_buffer
      - .actual_access:  read_only
        .address_space:  global
        .offset:         24
        .size:           8
        .value_kind:     global_buffer
      - .actual_access:  read_only
        .address_space:  global
        .offset:         32
        .size:           8
        .value_kind:     global_buffer
      - .address_space:  global
        .offset:         40
        .size:           8
        .value_kind:     global_buffer
    .group_segment_fixed_size: 1280
    .kernarg_segment_align: 8
    .kernarg_segment_size: 48
    .language:       OpenCL C
    .language_version:
      - 2
      - 0
    .max_flat_workgroup_size: 32
    .name:           _ZN9rocsparseL30gtsv_nopivot_pcr_shared_kernelILj32E21rocsparse_complex_numIfEEEviiiPKT0_S5_S5_PS3_
    .private_segment_fixed_size: 0
    .sgpr_count:     16
    .sgpr_spill_count: 0
    .symbol:         _ZN9rocsparseL30gtsv_nopivot_pcr_shared_kernelILj32E21rocsparse_complex_numIfEEEviiiPKT0_S5_S5_PS3_.kd
    .uniform_work_group_size: 1
    .uses_dynamic_stack: false
    .vgpr_count:     23
    .vgpr_spill_count: 0
    .wavefront_size: 64
  - .args:
      - .offset:         0
        .size:           4
        .value_kind:     by_value
      - .offset:         4
        .size:           4
        .value_kind:     by_value
      - .offset:         8
        .size:           4
        .value_kind:     by_value
      - .actual_access:  read_only
        .address_space:  global
        .offset:         16
        .size:           8
        .value_kind:     global_buffer
      - .actual_access:  read_only
        .address_space:  global
        .offset:         24
        .size:           8
        .value_kind:     global_buffer
      - .actual_access:  read_only
        .address_space:  global
        .offset:         32
        .size:           8
        .value_kind:     global_buffer
      - .address_space:  global
        .offset:         40
        .size:           8
        .value_kind:     global_buffer
    .group_segment_fixed_size: 2560
    .kernarg_segment_align: 8
    .kernarg_segment_size: 48
    .language:       OpenCL C
    .language_version:
      - 2
      - 0
    .max_flat_workgroup_size: 64
    .name:           _ZN9rocsparseL30gtsv_nopivot_pcr_shared_kernelILj64E21rocsparse_complex_numIfEEEviiiPKT0_S5_S5_PS3_
    .private_segment_fixed_size: 0
    .sgpr_count:     16
    .sgpr_spill_count: 0
    .symbol:         _ZN9rocsparseL30gtsv_nopivot_pcr_shared_kernelILj64E21rocsparse_complex_numIfEEEviiiPKT0_S5_S5_PS3_.kd
    .uniform_work_group_size: 1
    .uses_dynamic_stack: false
    .vgpr_count:     29
    .vgpr_spill_count: 0
    .wavefront_size: 64
  - .args:
      - .offset:         0
        .size:           4
        .value_kind:     by_value
      - .offset:         4
        .size:           4
        .value_kind:     by_value
      - .offset:         8
        .size:           4
        .value_kind:     by_value
      - .actual_access:  read_only
        .address_space:  global
        .offset:         16
        .size:           8
        .value_kind:     global_buffer
      - .actual_access:  read_only
        .address_space:  global
        .offset:         24
        .size:           8
        .value_kind:     global_buffer
      - .actual_access:  read_only
        .address_space:  global
        .offset:         32
        .size:           8
        .value_kind:     global_buffer
      - .address_space:  global
        .offset:         40
        .size:           8
        .value_kind:     global_buffer
    .group_segment_fixed_size: 5120
    .kernarg_segment_align: 8
    .kernarg_segment_size: 48
    .language:       OpenCL C
    .language_version:
      - 2
      - 0
    .max_flat_workgroup_size: 128
    .name:           _ZN9rocsparseL30gtsv_nopivot_pcr_shared_kernelILj128E21rocsparse_complex_numIfEEEviiiPKT0_S5_S5_PS3_
    .private_segment_fixed_size: 0
    .sgpr_count:     16
    .sgpr_spill_count: 0
    .symbol:         _ZN9rocsparseL30gtsv_nopivot_pcr_shared_kernelILj128E21rocsparse_complex_numIfEEEviiiPKT0_S5_S5_PS3_.kd
    .uniform_work_group_size: 1
    .uses_dynamic_stack: false
    .vgpr_count:     29
    .vgpr_spill_count: 0
    .wavefront_size: 64
  - .args:
      - .offset:         0
        .size:           4
        .value_kind:     by_value
      - .offset:         4
        .size:           4
        .value_kind:     by_value
      - .offset:         8
        .size:           4
        .value_kind:     by_value
      - .actual_access:  read_only
        .address_space:  global
        .offset:         16
        .size:           8
        .value_kind:     global_buffer
      - .actual_access:  read_only
        .address_space:  global
        .offset:         24
        .size:           8
        .value_kind:     global_buffer
      - .actual_access:  read_only
        .address_space:  global
        .offset:         32
        .size:           8
        .value_kind:     global_buffer
      - .address_space:  global
        .offset:         40
        .size:           8
        .value_kind:     global_buffer
    .group_segment_fixed_size: 10240
    .kernarg_segment_align: 8
    .kernarg_segment_size: 48
    .language:       OpenCL C
    .language_version:
      - 2
      - 0
    .max_flat_workgroup_size: 256
    .name:           _ZN9rocsparseL30gtsv_nopivot_pcr_shared_kernelILj256E21rocsparse_complex_numIfEEEviiiPKT0_S5_S5_PS3_
    .private_segment_fixed_size: 0
    .sgpr_count:     16
    .sgpr_spill_count: 0
    .symbol:         _ZN9rocsparseL30gtsv_nopivot_pcr_shared_kernelILj256E21rocsparse_complex_numIfEEEviiiPKT0_S5_S5_PS3_.kd
    .uniform_work_group_size: 1
    .uses_dynamic_stack: false
    .vgpr_count:     34
    .vgpr_spill_count: 0
    .wavefront_size: 64
  - .args:
      - .offset:         0
        .size:           4
        .value_kind:     by_value
      - .offset:         4
        .size:           4
        .value_kind:     by_value
      - .offset:         8
        .size:           4
        .value_kind:     by_value
      - .actual_access:  read_only
        .address_space:  global
        .offset:         16
        .size:           8
        .value_kind:     global_buffer
      - .actual_access:  read_only
        .address_space:  global
        .offset:         24
        .size:           8
        .value_kind:     global_buffer
      - .actual_access:  read_only
        .address_space:  global
        .offset:         32
        .size:           8
        .value_kind:     global_buffer
      - .address_space:  global
        .offset:         40
        .size:           8
        .value_kind:     global_buffer
    .group_segment_fixed_size: 20480
    .kernarg_segment_align: 8
    .kernarg_segment_size: 48
    .language:       OpenCL C
    .language_version:
      - 2
      - 0
    .max_flat_workgroup_size: 512
    .name:           _ZN9rocsparseL30gtsv_nopivot_pcr_shared_kernelILj512E21rocsparse_complex_numIfEEEviiiPKT0_S5_S5_PS3_
    .private_segment_fixed_size: 0
    .sgpr_count:     16
    .sgpr_spill_count: 0
    .symbol:         _ZN9rocsparseL30gtsv_nopivot_pcr_shared_kernelILj512E21rocsparse_complex_numIfEEEviiiPKT0_S5_S5_PS3_.kd
    .uniform_work_group_size: 1
    .uses_dynamic_stack: false
    .vgpr_count:     34
    .vgpr_spill_count: 0
    .wavefront_size: 64
  - .args:
      - .offset:         0
        .size:           4
        .value_kind:     by_value
      - .offset:         4
        .size:           4
        .value_kind:     by_value
      - .offset:         8
        .size:           4
        .value_kind:     by_value
      - .offset:         12
        .size:           4
        .value_kind:     by_value
      - .actual_access:  read_only
        .address_space:  global
        .offset:         16
        .size:           8
        .value_kind:     global_buffer
      - .actual_access:  read_only
        .address_space:  global
        .offset:         24
        .size:           8
        .value_kind:     global_buffer
      - .actual_access:  read_only
        .address_space:  global
        .offset:         32
        .size:           8
        .value_kind:     global_buffer
      - .actual_access:  read_only
        .address_space:  global
        .offset:         40
        .size:           8
        .value_kind:     global_buffer
      - .actual_access:  write_only
        .address_space:  global
        .offset:         48
        .size:           8
        .value_kind:     global_buffer
      - .actual_access:  write_only
        .address_space:  global
        .offset:         56
        .size:           8
        .value_kind:     global_buffer
      - .actual_access:  write_only
        .address_space:  global
        .offset:         64
        .size:           8
        .value_kind:     global_buffer
      - .actual_access:  write_only
        .address_space:  global
        .offset:         72
        .size:           8
        .value_kind:     global_buffer
    .group_segment_fixed_size: 0
    .kernarg_segment_align: 8
    .kernarg_segment_size: 80
    .language:       OpenCL C
    .language_version:
      - 2
      - 0
    .max_flat_workgroup_size: 256
    .name:           _ZN9rocsparseL37gtsv_nopivot_pcr_pow2_stage1_n_kernelILj256E21rocsparse_complex_numIfEEEviiiiPKT0_S5_S5_S5_PS3_S6_S6_S6_
    .private_segment_fixed_size: 0
    .sgpr_count:     31
    .sgpr_spill_count: 0
    .symbol:         _ZN9rocsparseL37gtsv_nopivot_pcr_pow2_stage1_n_kernelILj256E21rocsparse_complex_numIfEEEviiiiPKT0_S5_S5_S5_PS3_S6_S6_S6_.kd
    .uniform_work_group_size: 1
    .uses_dynamic_stack: false
    .vgpr_count:     21
    .vgpr_spill_count: 0
    .wavefront_size: 64
  - .args:
      - .offset:         0
        .size:           4
        .value_kind:     by_value
      - .offset:         4
        .size:           4
        .value_kind:     by_value
      - .offset:         8
        .size:           4
        .value_kind:     by_value
      - .actual_access:  read_only
        .address_space:  global
        .offset:         16
        .size:           8
        .value_kind:     global_buffer
      - .actual_access:  read_only
        .address_space:  global
        .offset:         24
        .size:           8
        .value_kind:     global_buffer
      - .actual_access:  read_only
        .address_space:  global
        .offset:         32
        .size:           8
        .value_kind:     global_buffer
      - .actual_access:  read_only
        .address_space:  global
        .offset:         40
        .size:           8
        .value_kind:     global_buffer
      - .actual_access:  write_only
        .address_space:  global
        .offset:         48
        .size:           8
        .value_kind:     global_buffer
      - .offset:         56
        .size:           4
        .value_kind:     hidden_block_count_x
      - .offset:         60
        .size:           4
        .value_kind:     hidden_block_count_y
      - .offset:         64
        .size:           4
        .value_kind:     hidden_block_count_z
      - .offset:         68
        .size:           2
        .value_kind:     hidden_group_size_x
      - .offset:         70
        .size:           2
        .value_kind:     hidden_group_size_y
      - .offset:         72
        .size:           2
        .value_kind:     hidden_group_size_z
      - .offset:         74
        .size:           2
        .value_kind:     hidden_remainder_x
      - .offset:         76
        .size:           2
        .value_kind:     hidden_remainder_y
      - .offset:         78
        .size:           2
        .value_kind:     hidden_remainder_z
      - .offset:         96
        .size:           8
        .value_kind:     hidden_global_offset_x
      - .offset:         104
        .size:           8
        .value_kind:     hidden_global_offset_y
      - .offset:         112
        .size:           8
        .value_kind:     hidden_global_offset_z
      - .offset:         120
        .size:           2
        .value_kind:     hidden_grid_dims
    .group_segment_fixed_size: 20480
    .kernarg_segment_align: 8
    .kernarg_segment_size: 312
    .language:       OpenCL C
    .language_version:
      - 2
      - 0
    .max_flat_workgroup_size: 256
    .name:           _ZN9rocsparseL34gtsv_nopivot_cr_pow2_stage2_kernelILj256E21rocsparse_complex_numIfEEEviiiPKT0_S5_S5_S5_PS3_
    .private_segment_fixed_size: 0
    .sgpr_count:     20
    .sgpr_spill_count: 0
    .symbol:         _ZN9rocsparseL34gtsv_nopivot_cr_pow2_stage2_kernelILj256E21rocsparse_complex_numIfEEEviiiPKT0_S5_S5_S5_PS3_.kd
    .uniform_work_group_size: 1
    .uses_dynamic_stack: false
    .vgpr_count:     33
    .vgpr_spill_count: 0
    .wavefront_size: 64
  - .args:
      - .offset:         0
        .size:           4
        .value_kind:     by_value
      - .offset:         4
        .size:           4
        .value_kind:     by_value
      - .offset:         8
        .size:           4
        .value_kind:     by_value
      - .offset:         12
        .size:           4
        .value_kind:     by_value
      - .actual_access:  read_only
        .address_space:  global
        .offset:         16
        .size:           8
        .value_kind:     global_buffer
      - .actual_access:  read_only
        .address_space:  global
        .offset:         24
        .size:           8
        .value_kind:     global_buffer
      - .actual_access:  read_only
        .address_space:  global
        .offset:         32
        .size:           8
        .value_kind:     global_buffer
      - .actual_access:  read_only
        .address_space:  global
        .offset:         40
        .size:           8
        .value_kind:     global_buffer
      - .actual_access:  write_only
        .address_space:  global
        .offset:         48
        .size:           8
        .value_kind:     global_buffer
      - .actual_access:  write_only
        .address_space:  global
        .offset:         56
        .size:           8
        .value_kind:     global_buffer
      - .actual_access:  write_only
        .address_space:  global
        .offset:         64
        .size:           8
        .value_kind:     global_buffer
      - .actual_access:  write_only
        .address_space:  global
        .offset:         72
        .size:           8
        .value_kind:     global_buffer
    .group_segment_fixed_size: 0
    .kernarg_segment_align: 8
    .kernarg_segment_size: 80
    .language:       OpenCL C
    .language_version:
      - 2
      - 0
    .max_flat_workgroup_size: 256
    .name:           _ZN9rocsparseL32gtsv_nopivot_pcr_stage1_n_kernelILj256E21rocsparse_complex_numIfEEEviiiiPKT0_S5_S5_S5_PS3_S6_S6_S6_
    .private_segment_fixed_size: 0
    .sgpr_count:     24
    .sgpr_spill_count: 0
    .symbol:         _ZN9rocsparseL32gtsv_nopivot_pcr_stage1_n_kernelILj256E21rocsparse_complex_numIfEEEviiiiPKT0_S5_S5_S5_PS3_S6_S6_S6_.kd
    .uniform_work_group_size: 1
    .uses_dynamic_stack: false
    .vgpr_count:     25
    .vgpr_spill_count: 0
    .wavefront_size: 64
  - .args:
      - .offset:         0
        .size:           4
        .value_kind:     by_value
      - .offset:         4
        .size:           4
        .value_kind:     by_value
      - .offset:         8
        .size:           4
        .value_kind:     by_value
      - .actual_access:  read_only
        .address_space:  global
        .offset:         16
        .size:           8
        .value_kind:     global_buffer
      - .actual_access:  read_only
        .address_space:  global
        .offset:         24
        .size:           8
        .value_kind:     global_buffer
      - .actual_access:  read_only
        .address_space:  global
        .offset:         32
        .size:           8
        .value_kind:     global_buffer
      - .actual_access:  read_only
        .address_space:  global
        .offset:         40
        .size:           8
        .value_kind:     global_buffer
      - .actual_access:  write_only
        .address_space:  global
        .offset:         48
        .size:           8
        .value_kind:     global_buffer
      - .offset:         56
        .size:           4
        .value_kind:     hidden_block_count_x
      - .offset:         60
        .size:           4
        .value_kind:     hidden_block_count_y
      - .offset:         64
        .size:           4
        .value_kind:     hidden_block_count_z
      - .offset:         68
        .size:           2
        .value_kind:     hidden_group_size_x
      - .offset:         70
        .size:           2
        .value_kind:     hidden_group_size_y
      - .offset:         72
        .size:           2
        .value_kind:     hidden_group_size_z
      - .offset:         74
        .size:           2
        .value_kind:     hidden_remainder_x
      - .offset:         76
        .size:           2
        .value_kind:     hidden_remainder_y
      - .offset:         78
        .size:           2
        .value_kind:     hidden_remainder_z
      - .offset:         96
        .size:           8
        .value_kind:     hidden_global_offset_x
      - .offset:         104
        .size:           8
        .value_kind:     hidden_global_offset_y
      - .offset:         112
        .size:           8
        .value_kind:     hidden_global_offset_z
      - .offset:         120
        .size:           2
        .value_kind:     hidden_grid_dims
    .group_segment_fixed_size: 20480
    .kernarg_segment_align: 8
    .kernarg_segment_size: 312
    .language:       OpenCL C
    .language_version:
      - 2
      - 0
    .max_flat_workgroup_size: 512
    .name:           _ZN9rocsparseL30gtsv_nopivot_pcr_stage2_kernelILj512E21rocsparse_complex_numIfEEEviiiPKT0_S5_S5_S5_PS3_
    .private_segment_fixed_size: 0
    .sgpr_count:     22
    .sgpr_spill_count: 0
    .symbol:         _ZN9rocsparseL30gtsv_nopivot_pcr_stage2_kernelILj512E21rocsparse_complex_numIfEEEviiiPKT0_S5_S5_S5_PS3_.kd
    .uniform_work_group_size: 1
    .uses_dynamic_stack: false
    .vgpr_count:     34
    .vgpr_spill_count: 0
    .wavefront_size: 64
  - .args:
      - .offset:         0
        .size:           4
        .value_kind:     by_value
      - .offset:         4
        .size:           4
        .value_kind:     by_value
      - .offset:         8
        .size:           4
        .value_kind:     by_value
      - .offset:         12
        .size:           4
        .value_kind:     by_value
      - .actual_access:  read_only
        .address_space:  global
        .offset:         16
        .size:           8
        .value_kind:     global_buffer
      - .actual_access:  read_only
        .address_space:  global
        .offset:         24
        .size:           8
        .value_kind:     global_buffer
      - .actual_access:  read_only
        .address_space:  global
        .offset:         32
        .size:           8
        .value_kind:     global_buffer
      - .actual_access:  read_only
        .address_space:  global
        .offset:         40
        .size:           8
        .value_kind:     global_buffer
      - .actual_access:  write_only
        .address_space:  global
        .offset:         48
        .size:           8
        .value_kind:     global_buffer
      - .actual_access:  write_only
        .address_space:  global
        .offset:         56
        .size:           8
        .value_kind:     global_buffer
      - .actual_access:  write_only
        .address_space:  global
        .offset:         64
        .size:           8
        .value_kind:     global_buffer
      - .actual_access:  write_only
        .address_space:  global
        .offset:         72
        .size:           8
        .value_kind:     global_buffer
    .group_segment_fixed_size: 0
    .kernarg_segment_align: 8
    .kernarg_segment_size: 80
    .language:       OpenCL C
    .language_version:
      - 2
      - 0
    .max_flat_workgroup_size: 256
    .name:           _ZN9rocsparseL35gtsv_nopivot_pcr_pow2_stage1_kernelILj256E21rocsparse_complex_numIfEEEviiiiPKT0_S5_S5_S5_PS3_S6_S6_S6_
    .private_segment_fixed_size: 0
    .sgpr_count:     22
    .sgpr_spill_count: 0
    .symbol:         _ZN9rocsparseL35gtsv_nopivot_pcr_pow2_stage1_kernelILj256E21rocsparse_complex_numIfEEEviiiiPKT0_S5_S5_S5_PS3_S6_S6_S6_.kd
    .uniform_work_group_size: 1
    .uses_dynamic_stack: false
    .vgpr_count:     27
    .vgpr_spill_count: 0
    .wavefront_size: 64
  - .args:
      - .offset:         0
        .size:           4
        .value_kind:     by_value
      - .offset:         4
        .size:           4
        .value_kind:     by_value
      - .offset:         8
        .size:           4
        .value_kind:     by_value
      - .offset:         12
        .size:           4
        .value_kind:     by_value
      - .actual_access:  read_only
        .address_space:  global
        .offset:         16
        .size:           8
        .value_kind:     global_buffer
      - .actual_access:  read_only
        .address_space:  global
        .offset:         24
        .size:           8
        .value_kind:     global_buffer
      - .actual_access:  read_only
        .address_space:  global
        .offset:         32
        .size:           8
        .value_kind:     global_buffer
      - .actual_access:  read_only
        .address_space:  global
        .offset:         40
        .size:           8
        .value_kind:     global_buffer
      - .actual_access:  read_only
        .address_space:  global
        .offset:         48
        .size:           8
        .value_kind:     global_buffer
      - .actual_access:  read_only
        .address_space:  global
        .offset:         56
        .size:           8
        .value_kind:     global_buffer
      - .address_space:  global
        .offset:         64
        .size:           8
        .value_kind:     global_buffer
      - .address_space:  global
        .offset:         72
        .size:           8
        .value_kind:     global_buffer
      - .address_space:  global
        .offset:         80
        .size:           8
        .value_kind:     global_buffer
    .group_segment_fixed_size: 0
    .kernarg_segment_align: 8
    .kernarg_segment_size: 88
    .language:       OpenCL C
    .language_version:
      - 2
      - 0
    .max_flat_workgroup_size: 256
    .name:           _ZN9rocsparseL38gtsv_nopivot_thomas_pow2_stage2_kernelILj256ELj512E21rocsparse_complex_numIfEEEviiiiPKT1_S5_S5_S5_PS3_S6_S6_S6_S6_
    .private_segment_fixed_size: 0
    .sgpr_count:     32
    .sgpr_spill_count: 0
    .symbol:         _ZN9rocsparseL38gtsv_nopivot_thomas_pow2_stage2_kernelILj256ELj512E21rocsparse_complex_numIfEEEviiiiPKT1_S5_S5_S5_PS3_S6_S6_S6_S6_.kd
    .uniform_work_group_size: 1
    .uses_dynamic_stack: false
    .vgpr_count:     26
    .vgpr_spill_count: 0
    .wavefront_size: 64
  - .args:
      - .offset:         0
        .size:           4
        .value_kind:     by_value
      - .offset:         4
        .size:           4
        .value_kind:     by_value
      - .offset:         8
        .size:           4
        .value_kind:     by_value
      - .offset:         12
        .size:           4
        .value_kind:     by_value
      - .actual_access:  read_only
        .address_space:  global
        .offset:         16
        .size:           8
        .value_kind:     global_buffer
      - .actual_access:  read_only
        .address_space:  global
        .offset:         24
        .size:           8
        .value_kind:     global_buffer
      - .actual_access:  read_only
        .address_space:  global
        .offset:         32
        .size:           8
        .value_kind:     global_buffer
      - .actual_access:  read_only
        .address_space:  global
        .offset:         40
        .size:           8
        .value_kind:     global_buffer
      - .actual_access:  write_only
        .address_space:  global
        .offset:         48
        .size:           8
        .value_kind:     global_buffer
      - .actual_access:  write_only
        .address_space:  global
        .offset:         56
        .size:           8
        .value_kind:     global_buffer
      - .actual_access:  write_only
        .address_space:  global
        .offset:         64
        .size:           8
        .value_kind:     global_buffer
      - .actual_access:  write_only
        .address_space:  global
        .offset:         72
        .size:           8
        .value_kind:     global_buffer
    .group_segment_fixed_size: 0
    .kernarg_segment_align: 8
    .kernarg_segment_size: 80
    .language:       OpenCL C
    .language_version:
      - 2
      - 0
    .max_flat_workgroup_size: 256
    .name:           _ZN9rocsparseL30gtsv_nopivot_pcr_stage1_kernelILj256E21rocsparse_complex_numIfEEEviiiiPKT0_S5_S5_S5_PS3_S6_S6_S6_
    .private_segment_fixed_size: 0
    .sgpr_count:     18
    .sgpr_spill_count: 0
    .symbol:         _ZN9rocsparseL30gtsv_nopivot_pcr_stage1_kernelILj256E21rocsparse_complex_numIfEEEviiiiPKT0_S5_S5_S5_PS3_S6_S6_S6_.kd
    .uniform_work_group_size: 1
    .uses_dynamic_stack: false
    .vgpr_count:     24
    .vgpr_spill_count: 0
    .wavefront_size: 64
  - .args:
      - .offset:         0
        .size:           4
        .value_kind:     by_value
      - .offset:         4
        .size:           4
        .value_kind:     by_value
      - .offset:         8
        .size:           4
        .value_kind:     by_value
      - .offset:         12
        .size:           4
        .value_kind:     by_value
      - .actual_access:  read_only
        .address_space:  global
        .offset:         16
        .size:           8
        .value_kind:     global_buffer
      - .actual_access:  read_only
        .address_space:  global
        .offset:         24
        .size:           8
        .value_kind:     global_buffer
      - .actual_access:  read_only
        .address_space:  global
        .offset:         32
        .size:           8
        .value_kind:     global_buffer
      - .actual_access:  read_only
        .address_space:  global
        .offset:         40
        .size:           8
        .value_kind:     global_buffer
      - .actual_access:  read_only
        .address_space:  global
        .offset:         48
        .size:           8
        .value_kind:     global_buffer
      - .actual_access:  read_only
        .address_space:  global
        .offset:         56
        .size:           8
        .value_kind:     global_buffer
      - .address_space:  global
        .offset:         64
        .size:           8
        .value_kind:     global_buffer
      - .address_space:  global
        .offset:         72
        .size:           8
        .value_kind:     global_buffer
      - .address_space:  global
        .offset:         80
        .size:           8
        .value_kind:     global_buffer
    .group_segment_fixed_size: 0
    .kernarg_segment_align: 8
    .kernarg_segment_size: 88
    .language:       OpenCL C
    .language_version:
      - 2
      - 0
    .max_flat_workgroup_size: 256
    .name:           _ZN9rocsparseL33gtsv_nopivot_thomas_stage2_kernelILj256E21rocsparse_complex_numIfEEEviiiiPKT0_S5_S5_S5_PS3_S6_S6_S6_S6_
    .private_segment_fixed_size: 0
    .sgpr_count:     29
    .sgpr_spill_count: 0
    .symbol:         _ZN9rocsparseL33gtsv_nopivot_thomas_stage2_kernelILj256E21rocsparse_complex_numIfEEEviiiiPKT0_S5_S5_S5_PS3_S6_S6_S6_S6_.kd
    .uniform_work_group_size: 1
    .uses_dynamic_stack: false
    .vgpr_count:     29
    .vgpr_spill_count: 0
    .wavefront_size: 64
  - .args:
      - .offset:         0
        .size:           4
        .value_kind:     by_value
      - .offset:         4
        .size:           4
        .value_kind:     by_value
      - .offset:         8
        .size:           4
        .value_kind:     by_value
      - .actual_access:  read_only
        .address_space:  global
        .offset:         16
        .size:           8
        .value_kind:     global_buffer
      - .actual_access:  read_only
        .address_space:  global
        .offset:         24
        .size:           8
        .value_kind:     global_buffer
      - .actual_access:  read_only
        .address_space:  global
        .offset:         32
        .size:           8
        .value_kind:     global_buffer
      - .address_space:  global
        .offset:         40
        .size:           8
        .value_kind:     global_buffer
    .group_segment_fixed_size: 240
    .kernarg_segment_align: 8
    .kernarg_segment_size: 48
    .language:       OpenCL C
    .language_version:
      - 2
      - 0
    .max_flat_workgroup_size: 2
    .name:           _ZN9rocsparseL35gtsv_nopivot_pcr_pow2_shared_kernelILj2E21rocsparse_complex_numIdEEEviiiPKT0_S5_S5_PS3_
    .private_segment_fixed_size: 0
    .sgpr_count:     20
    .sgpr_spill_count: 0
    .symbol:         _ZN9rocsparseL35gtsv_nopivot_pcr_pow2_shared_kernelILj2E21rocsparse_complex_numIdEEEviiiPKT0_S5_S5_PS3_.kd
    .uniform_work_group_size: 1
    .uses_dynamic_stack: false
    .vgpr_count:     34
    .vgpr_spill_count: 0
    .wavefront_size: 64
  - .args:
      - .offset:         0
        .size:           4
        .value_kind:     by_value
      - .offset:         4
        .size:           4
        .value_kind:     by_value
      - .offset:         8
        .size:           4
        .value_kind:     by_value
      - .actual_access:  read_only
        .address_space:  global
        .offset:         16
        .size:           8
        .value_kind:     global_buffer
      - .actual_access:  read_only
        .address_space:  global
        .offset:         24
        .size:           8
        .value_kind:     global_buffer
      - .actual_access:  read_only
        .address_space:  global
        .offset:         32
        .size:           8
        .value_kind:     global_buffer
      - .address_space:  global
        .offset:         40
        .size:           8
        .value_kind:     global_buffer
    .group_segment_fixed_size: 400
    .kernarg_segment_align: 8
    .kernarg_segment_size: 48
    .language:       OpenCL C
    .language_version:
      - 2
      - 0
    .max_flat_workgroup_size: 4
    .name:           _ZN9rocsparseL35gtsv_nopivot_pcr_pow2_shared_kernelILj4E21rocsparse_complex_numIdEEEviiiPKT0_S5_S5_PS3_
    .private_segment_fixed_size: 0
    .sgpr_count:     20
    .sgpr_spill_count: 0
    .symbol:         _ZN9rocsparseL35gtsv_nopivot_pcr_pow2_shared_kernelILj4E21rocsparse_complex_numIdEEEviiiPKT0_S5_S5_PS3_.kd
    .uniform_work_group_size: 1
    .uses_dynamic_stack: false
    .vgpr_count:     34
    .vgpr_spill_count: 0
    .wavefront_size: 64
  - .args:
      - .offset:         0
        .size:           4
        .value_kind:     by_value
      - .offset:         4
        .size:           4
        .value_kind:     by_value
      - .offset:         8
        .size:           4
        .value_kind:     by_value
      - .actual_access:  read_only
        .address_space:  global
        .offset:         16
        .size:           8
        .value_kind:     global_buffer
      - .actual_access:  read_only
        .address_space:  global
        .offset:         24
        .size:           8
        .value_kind:     global_buffer
      - .actual_access:  read_only
        .address_space:  global
        .offset:         32
        .size:           8
        .value_kind:     global_buffer
      - .address_space:  global
        .offset:         40
        .size:           8
        .value_kind:     global_buffer
    .group_segment_fixed_size: 720
    .kernarg_segment_align: 8
    .kernarg_segment_size: 48
    .language:       OpenCL C
    .language_version:
      - 2
      - 0
    .max_flat_workgroup_size: 8
    .name:           _ZN9rocsparseL35gtsv_nopivot_pcr_pow2_shared_kernelILj8E21rocsparse_complex_numIdEEEviiiPKT0_S5_S5_PS3_
    .private_segment_fixed_size: 0
    .sgpr_count:     20
    .sgpr_spill_count: 0
    .symbol:         _ZN9rocsparseL35gtsv_nopivot_pcr_pow2_shared_kernelILj8E21rocsparse_complex_numIdEEEviiiPKT0_S5_S5_PS3_.kd
    .uniform_work_group_size: 1
    .uses_dynamic_stack: false
    .vgpr_count:     34
    .vgpr_spill_count: 0
    .wavefront_size: 64
  - .args:
      - .offset:         0
        .size:           4
        .value_kind:     by_value
      - .offset:         4
        .size:           4
        .value_kind:     by_value
      - .offset:         8
        .size:           4
        .value_kind:     by_value
      - .actual_access:  read_only
        .address_space:  global
        .offset:         16
        .size:           8
        .value_kind:     global_buffer
      - .actual_access:  read_only
        .address_space:  global
        .offset:         24
        .size:           8
        .value_kind:     global_buffer
      - .actual_access:  read_only
        .address_space:  global
        .offset:         32
        .size:           8
        .value_kind:     global_buffer
      - .address_space:  global
        .offset:         40
        .size:           8
        .value_kind:     global_buffer
    .group_segment_fixed_size: 1360
    .kernarg_segment_align: 8
    .kernarg_segment_size: 48
    .language:       OpenCL C
    .language_version:
      - 2
      - 0
    .max_flat_workgroup_size: 16
    .name:           _ZN9rocsparseL35gtsv_nopivot_pcr_pow2_shared_kernelILj16E21rocsparse_complex_numIdEEEviiiPKT0_S5_S5_PS3_
    .private_segment_fixed_size: 0
    .sgpr_count:     20
    .sgpr_spill_count: 0
    .symbol:         _ZN9rocsparseL35gtsv_nopivot_pcr_pow2_shared_kernelILj16E21rocsparse_complex_numIdEEEviiiPKT0_S5_S5_PS3_.kd
    .uniform_work_group_size: 1
    .uses_dynamic_stack: false
    .vgpr_count:     34
    .vgpr_spill_count: 0
    .wavefront_size: 64
  - .args:
      - .offset:         0
        .size:           4
        .value_kind:     by_value
      - .offset:         4
        .size:           4
        .value_kind:     by_value
      - .offset:         8
        .size:           4
        .value_kind:     by_value
      - .actual_access:  read_only
        .address_space:  global
        .offset:         16
        .size:           8
        .value_kind:     global_buffer
      - .actual_access:  read_only
        .address_space:  global
        .offset:         24
        .size:           8
        .value_kind:     global_buffer
      - .actual_access:  read_only
        .address_space:  global
        .offset:         32
        .size:           8
        .value_kind:     global_buffer
      - .address_space:  global
        .offset:         40
        .size:           8
        .value_kind:     global_buffer
    .group_segment_fixed_size: 2640
    .kernarg_segment_align: 8
    .kernarg_segment_size: 48
    .language:       OpenCL C
    .language_version:
      - 2
      - 0
    .max_flat_workgroup_size: 32
    .name:           _ZN9rocsparseL35gtsv_nopivot_pcr_pow2_shared_kernelILj32E21rocsparse_complex_numIdEEEviiiPKT0_S5_S5_PS3_
    .private_segment_fixed_size: 0
    .sgpr_count:     20
    .sgpr_spill_count: 0
    .symbol:         _ZN9rocsparseL35gtsv_nopivot_pcr_pow2_shared_kernelILj32E21rocsparse_complex_numIdEEEviiiPKT0_S5_S5_PS3_.kd
    .uniform_work_group_size: 1
    .uses_dynamic_stack: false
    .vgpr_count:     39
    .vgpr_spill_count: 0
    .wavefront_size: 64
  - .args:
      - .offset:         0
        .size:           4
        .value_kind:     by_value
      - .offset:         4
        .size:           4
        .value_kind:     by_value
      - .offset:         8
        .size:           4
        .value_kind:     by_value
      - .actual_access:  read_only
        .address_space:  global
        .offset:         16
        .size:           8
        .value_kind:     global_buffer
      - .actual_access:  read_only
        .address_space:  global
        .offset:         24
        .size:           8
        .value_kind:     global_buffer
      - .actual_access:  read_only
        .address_space:  global
        .offset:         32
        .size:           8
        .value_kind:     global_buffer
      - .address_space:  global
        .offset:         40
        .size:           8
        .value_kind:     global_buffer
    .group_segment_fixed_size: 5200
    .kernarg_segment_align: 8
    .kernarg_segment_size: 48
    .language:       OpenCL C
    .language_version:
      - 2
      - 0
    .max_flat_workgroup_size: 64
    .name:           _ZN9rocsparseL35gtsv_nopivot_pcr_pow2_shared_kernelILj64E21rocsparse_complex_numIdEEEviiiPKT0_S5_S5_PS3_
    .private_segment_fixed_size: 0
    .sgpr_count:     20
    .sgpr_spill_count: 0
    .symbol:         _ZN9rocsparseL35gtsv_nopivot_pcr_pow2_shared_kernelILj64E21rocsparse_complex_numIdEEEviiiPKT0_S5_S5_PS3_.kd
    .uniform_work_group_size: 1
    .uses_dynamic_stack: false
    .vgpr_count:     66
    .vgpr_spill_count: 0
    .wavefront_size: 64
  - .args:
      - .offset:         0
        .size:           4
        .value_kind:     by_value
      - .offset:         4
        .size:           4
        .value_kind:     by_value
      - .offset:         8
        .size:           4
        .value_kind:     by_value
      - .actual_access:  read_only
        .address_space:  global
        .offset:         16
        .size:           8
        .value_kind:     global_buffer
      - .actual_access:  read_only
        .address_space:  global
        .offset:         24
        .size:           8
        .value_kind:     global_buffer
      - .actual_access:  read_only
        .address_space:  global
        .offset:         32
        .size:           8
        .value_kind:     global_buffer
      - .address_space:  global
        .offset:         40
        .size:           8
        .value_kind:     global_buffer
    .group_segment_fixed_size: 15360
    .kernarg_segment_align: 8
    .kernarg_segment_size: 48
    .language:       OpenCL C
    .language_version:
      - 2
      - 0
    .max_flat_workgroup_size: 64
    .name:           _ZN9rocsparseL37gtsv_nopivot_crpcr_pow2_shared_kernelILj64ELj64E21rocsparse_complex_numIdEEEviiiPKT1_S5_S5_PS3_
    .private_segment_fixed_size: 0
    .sgpr_count:     20
    .sgpr_spill_count: 0
    .symbol:         _ZN9rocsparseL37gtsv_nopivot_crpcr_pow2_shared_kernelILj64ELj64E21rocsparse_complex_numIdEEEviiiPKT1_S5_S5_PS3_.kd
    .uniform_work_group_size: 1
    .uses_dynamic_stack: false
    .vgpr_count:     72
    .vgpr_spill_count: 0
    .wavefront_size: 64
  - .args:
      - .offset:         0
        .size:           4
        .value_kind:     by_value
      - .offset:         4
        .size:           4
        .value_kind:     by_value
      - .offset:         8
        .size:           4
        .value_kind:     by_value
      - .actual_access:  read_only
        .address_space:  global
        .offset:         16
        .size:           8
        .value_kind:     global_buffer
      - .actual_access:  read_only
        .address_space:  global
        .offset:         24
        .size:           8
        .value_kind:     global_buffer
      - .actual_access:  read_only
        .address_space:  global
        .offset:         32
        .size:           8
        .value_kind:     global_buffer
      - .address_space:  global
        .offset:         40
        .size:           8
        .value_kind:     global_buffer
    .group_segment_fixed_size: 25600
    .kernarg_segment_align: 8
    .kernarg_segment_size: 48
    .language:       OpenCL C
    .language_version:
      - 2
      - 0
    .max_flat_workgroup_size: 128
    .name:           _ZN9rocsparseL37gtsv_nopivot_crpcr_pow2_shared_kernelILj128ELj64E21rocsparse_complex_numIdEEEviiiPKT1_S5_S5_PS3_
    .private_segment_fixed_size: 0
    .sgpr_count:     20
    .sgpr_spill_count: 0
    .symbol:         _ZN9rocsparseL37gtsv_nopivot_crpcr_pow2_shared_kernelILj128ELj64E21rocsparse_complex_numIdEEEviiiPKT1_S5_S5_PS3_.kd
    .uniform_work_group_size: 1
    .uses_dynamic_stack: false
    .vgpr_count:     73
    .vgpr_spill_count: 0
    .wavefront_size: 64
  - .args:
      - .offset:         0
        .size:           4
        .value_kind:     by_value
      - .offset:         4
        .size:           4
        .value_kind:     by_value
      - .offset:         8
        .size:           4
        .value_kind:     by_value
      - .actual_access:  read_only
        .address_space:  global
        .offset:         16
        .size:           8
        .value_kind:     global_buffer
      - .actual_access:  read_only
        .address_space:  global
        .offset:         24
        .size:           8
        .value_kind:     global_buffer
      - .actual_access:  read_only
        .address_space:  global
        .offset:         32
        .size:           8
        .value_kind:     global_buffer
      - .address_space:  global
        .offset:         40
        .size:           8
        .value_kind:     global_buffer
    .group_segment_fixed_size: 46080
    .kernarg_segment_align: 8
    .kernarg_segment_size: 48
    .language:       OpenCL C
    .language_version:
      - 2
      - 0
    .max_flat_workgroup_size: 256
    .name:           _ZN9rocsparseL37gtsv_nopivot_crpcr_pow2_shared_kernelILj256ELj64E21rocsparse_complex_numIdEEEviiiPKT1_S5_S5_PS3_
    .private_segment_fixed_size: 0
    .sgpr_count:     20
    .sgpr_spill_count: 0
    .symbol:         _ZN9rocsparseL37gtsv_nopivot_crpcr_pow2_shared_kernelILj256ELj64E21rocsparse_complex_numIdEEEviiiPKT1_S5_S5_PS3_.kd
    .uniform_work_group_size: 1
    .uses_dynamic_stack: false
    .vgpr_count:     73
    .vgpr_spill_count: 0
    .wavefront_size: 64
  - .args:
      - .offset:         0
        .size:           4
        .value_kind:     by_value
      - .offset:         4
        .size:           4
        .value_kind:     by_value
      - .offset:         8
        .size:           4
        .value_kind:     by_value
      - .actual_access:  read_only
        .address_space:  global
        .offset:         16
        .size:           8
        .value_kind:     global_buffer
      - .actual_access:  read_only
        .address_space:  global
        .offset:         24
        .size:           8
        .value_kind:     global_buffer
      - .actual_access:  read_only
        .address_space:  global
        .offset:         32
        .size:           8
        .value_kind:     global_buffer
      - .address_space:  global
        .offset:         40
        .size:           8
        .value_kind:     global_buffer
    .group_segment_fixed_size: 320
    .kernarg_segment_align: 8
    .kernarg_segment_size: 48
    .language:       OpenCL C
    .language_version:
      - 2
      - 0
    .max_flat_workgroup_size: 4
    .name:           _ZN9rocsparseL30gtsv_nopivot_pcr_shared_kernelILj4E21rocsparse_complex_numIdEEEviiiPKT0_S5_S5_PS3_
    .private_segment_fixed_size: 0
    .sgpr_count:     16
    .sgpr_spill_count: 0
    .symbol:         _ZN9rocsparseL30gtsv_nopivot_pcr_shared_kernelILj4E21rocsparse_complex_numIdEEEviiiPKT0_S5_S5_PS3_.kd
    .uniform_work_group_size: 1
    .uses_dynamic_stack: false
    .vgpr_count:     47
    .vgpr_spill_count: 0
    .wavefront_size: 64
  - .args:
      - .offset:         0
        .size:           4
        .value_kind:     by_value
      - .offset:         4
        .size:           4
        .value_kind:     by_value
      - .offset:         8
        .size:           4
        .value_kind:     by_value
      - .actual_access:  read_only
        .address_space:  global
        .offset:         16
        .size:           8
        .value_kind:     global_buffer
      - .actual_access:  read_only
        .address_space:  global
        .offset:         24
        .size:           8
        .value_kind:     global_buffer
      - .actual_access:  read_only
        .address_space:  global
        .offset:         32
        .size:           8
        .value_kind:     global_buffer
      - .address_space:  global
        .offset:         40
        .size:           8
        .value_kind:     global_buffer
    .group_segment_fixed_size: 640
    .kernarg_segment_align: 8
    .kernarg_segment_size: 48
    .language:       OpenCL C
    .language_version:
      - 2
      - 0
    .max_flat_workgroup_size: 8
    .name:           _ZN9rocsparseL30gtsv_nopivot_pcr_shared_kernelILj8E21rocsparse_complex_numIdEEEviiiPKT0_S5_S5_PS3_
    .private_segment_fixed_size: 0
    .sgpr_count:     16
    .sgpr_spill_count: 0
    .symbol:         _ZN9rocsparseL30gtsv_nopivot_pcr_shared_kernelILj8E21rocsparse_complex_numIdEEEviiiPKT0_S5_S5_PS3_.kd
    .uniform_work_group_size: 1
    .uses_dynamic_stack: false
    .vgpr_count:     47
    .vgpr_spill_count: 0
    .wavefront_size: 64
  - .args:
      - .offset:         0
        .size:           4
        .value_kind:     by_value
      - .offset:         4
        .size:           4
        .value_kind:     by_value
      - .offset:         8
        .size:           4
        .value_kind:     by_value
      - .actual_access:  read_only
        .address_space:  global
        .offset:         16
        .size:           8
        .value_kind:     global_buffer
      - .actual_access:  read_only
        .address_space:  global
        .offset:         24
        .size:           8
        .value_kind:     global_buffer
      - .actual_access:  read_only
        .address_space:  global
        .offset:         32
        .size:           8
        .value_kind:     global_buffer
      - .address_space:  global
        .offset:         40
        .size:           8
        .value_kind:     global_buffer
    .group_segment_fixed_size: 1280
    .kernarg_segment_align: 8
    .kernarg_segment_size: 48
    .language:       OpenCL C
    .language_version:
      - 2
      - 0
    .max_flat_workgroup_size: 16
    .name:           _ZN9rocsparseL30gtsv_nopivot_pcr_shared_kernelILj16E21rocsparse_complex_numIdEEEviiiPKT0_S5_S5_PS3_
    .private_segment_fixed_size: 0
    .sgpr_count:     16
    .sgpr_spill_count: 0
    .symbol:         _ZN9rocsparseL30gtsv_nopivot_pcr_shared_kernelILj16E21rocsparse_complex_numIdEEEviiiPKT0_S5_S5_PS3_.kd
    .uniform_work_group_size: 1
    .uses_dynamic_stack: false
    .vgpr_count:     47
    .vgpr_spill_count: 0
    .wavefront_size: 64
  - .args:
      - .offset:         0
        .size:           4
        .value_kind:     by_value
      - .offset:         4
        .size:           4
        .value_kind:     by_value
      - .offset:         8
        .size:           4
        .value_kind:     by_value
      - .actual_access:  read_only
        .address_space:  global
        .offset:         16
        .size:           8
        .value_kind:     global_buffer
      - .actual_access:  read_only
        .address_space:  global
        .offset:         24
        .size:           8
        .value_kind:     global_buffer
      - .actual_access:  read_only
        .address_space:  global
        .offset:         32
        .size:           8
        .value_kind:     global_buffer
      - .address_space:  global
        .offset:         40
        .size:           8
        .value_kind:     global_buffer
    .group_segment_fixed_size: 2560
    .kernarg_segment_align: 8
    .kernarg_segment_size: 48
    .language:       OpenCL C
    .language_version:
      - 2
      - 0
    .max_flat_workgroup_size: 32
    .name:           _ZN9rocsparseL30gtsv_nopivot_pcr_shared_kernelILj32E21rocsparse_complex_numIdEEEviiiPKT0_S5_S5_PS3_
    .private_segment_fixed_size: 0
    .sgpr_count:     16
    .sgpr_spill_count: 0
    .symbol:         _ZN9rocsparseL30gtsv_nopivot_pcr_shared_kernelILj32E21rocsparse_complex_numIdEEEviiiPKT0_S5_S5_PS3_.kd
    .uniform_work_group_size: 1
    .uses_dynamic_stack: false
    .vgpr_count:     47
    .vgpr_spill_count: 0
    .wavefront_size: 64
  - .args:
      - .offset:         0
        .size:           4
        .value_kind:     by_value
      - .offset:         4
        .size:           4
        .value_kind:     by_value
      - .offset:         8
        .size:           4
        .value_kind:     by_value
      - .actual_access:  read_only
        .address_space:  global
        .offset:         16
        .size:           8
        .value_kind:     global_buffer
      - .actual_access:  read_only
        .address_space:  global
        .offset:         24
        .size:           8
        .value_kind:     global_buffer
      - .actual_access:  read_only
        .address_space:  global
        .offset:         32
        .size:           8
        .value_kind:     global_buffer
      - .address_space:  global
        .offset:         40
        .size:           8
        .value_kind:     global_buffer
    .group_segment_fixed_size: 5120
    .kernarg_segment_align: 8
    .kernarg_segment_size: 48
    .language:       OpenCL C
    .language_version:
      - 2
      - 0
    .max_flat_workgroup_size: 64
    .name:           _ZN9rocsparseL30gtsv_nopivot_pcr_shared_kernelILj64E21rocsparse_complex_numIdEEEviiiPKT0_S5_S5_PS3_
    .private_segment_fixed_size: 0
    .sgpr_count:     16
    .sgpr_spill_count: 0
    .symbol:         _ZN9rocsparseL30gtsv_nopivot_pcr_shared_kernelILj64E21rocsparse_complex_numIdEEEviiiPKT0_S5_S5_PS3_.kd
    .uniform_work_group_size: 1
    .uses_dynamic_stack: false
    .vgpr_count:     66
    .vgpr_spill_count: 0
    .wavefront_size: 64
  - .args:
      - .offset:         0
        .size:           4
        .value_kind:     by_value
      - .offset:         4
        .size:           4
        .value_kind:     by_value
      - .offset:         8
        .size:           4
        .value_kind:     by_value
      - .actual_access:  read_only
        .address_space:  global
        .offset:         16
        .size:           8
        .value_kind:     global_buffer
      - .actual_access:  read_only
        .address_space:  global
        .offset:         24
        .size:           8
        .value_kind:     global_buffer
      - .actual_access:  read_only
        .address_space:  global
        .offset:         32
        .size:           8
        .value_kind:     global_buffer
      - .address_space:  global
        .offset:         40
        .size:           8
        .value_kind:     global_buffer
    .group_segment_fixed_size: 10240
    .kernarg_segment_align: 8
    .kernarg_segment_size: 48
    .language:       OpenCL C
    .language_version:
      - 2
      - 0
    .max_flat_workgroup_size: 128
    .name:           _ZN9rocsparseL30gtsv_nopivot_pcr_shared_kernelILj128E21rocsparse_complex_numIdEEEviiiPKT0_S5_S5_PS3_
    .private_segment_fixed_size: 0
    .sgpr_count:     16
    .sgpr_spill_count: 0
    .symbol:         _ZN9rocsparseL30gtsv_nopivot_pcr_shared_kernelILj128E21rocsparse_complex_numIdEEEviiiPKT0_S5_S5_PS3_.kd
    .uniform_work_group_size: 1
    .uses_dynamic_stack: false
    .vgpr_count:     70
    .vgpr_spill_count: 0
    .wavefront_size: 64
  - .args:
      - .offset:         0
        .size:           4
        .value_kind:     by_value
      - .offset:         4
        .size:           4
        .value_kind:     by_value
      - .offset:         8
        .size:           4
        .value_kind:     by_value
      - .actual_access:  read_only
        .address_space:  global
        .offset:         16
        .size:           8
        .value_kind:     global_buffer
      - .actual_access:  read_only
        .address_space:  global
        .offset:         24
        .size:           8
        .value_kind:     global_buffer
      - .actual_access:  read_only
        .address_space:  global
        .offset:         32
        .size:           8
        .value_kind:     global_buffer
      - .address_space:  global
        .offset:         40
        .size:           8
        .value_kind:     global_buffer
    .group_segment_fixed_size: 20480
    .kernarg_segment_align: 8
    .kernarg_segment_size: 48
    .language:       OpenCL C
    .language_version:
      - 2
      - 0
    .max_flat_workgroup_size: 256
    .name:           _ZN9rocsparseL30gtsv_nopivot_pcr_shared_kernelILj256E21rocsparse_complex_numIdEEEviiiPKT0_S5_S5_PS3_
    .private_segment_fixed_size: 0
    .sgpr_count:     16
    .sgpr_spill_count: 0
    .symbol:         _ZN9rocsparseL30gtsv_nopivot_pcr_shared_kernelILj256E21rocsparse_complex_numIdEEEviiiPKT0_S5_S5_PS3_.kd
    .uniform_work_group_size: 1
    .uses_dynamic_stack: false
    .vgpr_count:     70
    .vgpr_spill_count: 0
    .wavefront_size: 64
  - .args:
      - .offset:         0
        .size:           4
        .value_kind:     by_value
      - .offset:         4
        .size:           4
        .value_kind:     by_value
      - .offset:         8
        .size:           4
        .value_kind:     by_value
      - .actual_access:  read_only
        .address_space:  global
        .offset:         16
        .size:           8
        .value_kind:     global_buffer
      - .actual_access:  read_only
        .address_space:  global
        .offset:         24
        .size:           8
        .value_kind:     global_buffer
      - .actual_access:  read_only
        .address_space:  global
        .offset:         32
        .size:           8
        .value_kind:     global_buffer
      - .address_space:  global
        .offset:         40
        .size:           8
        .value_kind:     global_buffer
    .group_segment_fixed_size: 40960
    .kernarg_segment_align: 8
    .kernarg_segment_size: 48
    .language:       OpenCL C
    .language_version:
      - 2
      - 0
    .max_flat_workgroup_size: 512
    .name:           _ZN9rocsparseL30gtsv_nopivot_pcr_shared_kernelILj512E21rocsparse_complex_numIdEEEviiiPKT0_S5_S5_PS3_
    .private_segment_fixed_size: 0
    .sgpr_count:     16
    .sgpr_spill_count: 0
    .symbol:         _ZN9rocsparseL30gtsv_nopivot_pcr_shared_kernelILj512E21rocsparse_complex_numIdEEEviiiPKT0_S5_S5_PS3_.kd
    .uniform_work_group_size: 1
    .uses_dynamic_stack: false
    .vgpr_count:     70
    .vgpr_spill_count: 0
    .wavefront_size: 64
  - .args:
      - .offset:         0
        .size:           4
        .value_kind:     by_value
      - .offset:         4
        .size:           4
        .value_kind:     by_value
      - .offset:         8
        .size:           4
        .value_kind:     by_value
      - .offset:         12
        .size:           4
        .value_kind:     by_value
      - .actual_access:  read_only
        .address_space:  global
        .offset:         16
        .size:           8
        .value_kind:     global_buffer
      - .actual_access:  read_only
        .address_space:  global
        .offset:         24
        .size:           8
        .value_kind:     global_buffer
      - .actual_access:  read_only
        .address_space:  global
        .offset:         32
        .size:           8
        .value_kind:     global_buffer
      - .actual_access:  read_only
        .address_space:  global
        .offset:         40
        .size:           8
        .value_kind:     global_buffer
      - .actual_access:  write_only
        .address_space:  global
        .offset:         48
        .size:           8
        .value_kind:     global_buffer
      - .actual_access:  write_only
        .address_space:  global
        .offset:         56
        .size:           8
        .value_kind:     global_buffer
      - .actual_access:  write_only
        .address_space:  global
        .offset:         64
        .size:           8
        .value_kind:     global_buffer
      - .actual_access:  write_only
        .address_space:  global
        .offset:         72
        .size:           8
        .value_kind:     global_buffer
    .group_segment_fixed_size: 0
    .kernarg_segment_align: 8
    .kernarg_segment_size: 80
    .language:       OpenCL C
    .language_version:
      - 2
      - 0
    .max_flat_workgroup_size: 256
    .name:           _ZN9rocsparseL37gtsv_nopivot_pcr_pow2_stage1_n_kernelILj256E21rocsparse_complex_numIdEEEviiiiPKT0_S5_S5_S5_PS3_S6_S6_S6_
    .private_segment_fixed_size: 0
    .sgpr_count:     30
    .sgpr_spill_count: 0
    .symbol:         _ZN9rocsparseL37gtsv_nopivot_pcr_pow2_stage1_n_kernelILj256E21rocsparse_complex_numIdEEEviiiiPKT0_S5_S5_S5_PS3_S6_S6_S6_.kd
    .uniform_work_group_size: 1
    .uses_dynamic_stack: false
    .vgpr_count:     34
    .vgpr_spill_count: 0
    .wavefront_size: 64
  - .args:
      - .offset:         0
        .size:           4
        .value_kind:     by_value
      - .offset:         4
        .size:           4
        .value_kind:     by_value
      - .offset:         8
        .size:           4
        .value_kind:     by_value
      - .actual_access:  read_only
        .address_space:  global
        .offset:         16
        .size:           8
        .value_kind:     global_buffer
      - .actual_access:  read_only
        .address_space:  global
        .offset:         24
        .size:           8
        .value_kind:     global_buffer
      - .actual_access:  read_only
        .address_space:  global
        .offset:         32
        .size:           8
        .value_kind:     global_buffer
      - .actual_access:  read_only
        .address_space:  global
        .offset:         40
        .size:           8
        .value_kind:     global_buffer
      - .actual_access:  write_only
        .address_space:  global
        .offset:         48
        .size:           8
        .value_kind:     global_buffer
      - .offset:         56
        .size:           4
        .value_kind:     hidden_block_count_x
      - .offset:         60
        .size:           4
        .value_kind:     hidden_block_count_y
      - .offset:         64
        .size:           4
        .value_kind:     hidden_block_count_z
      - .offset:         68
        .size:           2
        .value_kind:     hidden_group_size_x
      - .offset:         70
        .size:           2
        .value_kind:     hidden_group_size_y
      - .offset:         72
        .size:           2
        .value_kind:     hidden_group_size_z
      - .offset:         74
        .size:           2
        .value_kind:     hidden_remainder_x
      - .offset:         76
        .size:           2
        .value_kind:     hidden_remainder_y
      - .offset:         78
        .size:           2
        .value_kind:     hidden_remainder_z
      - .offset:         96
        .size:           8
        .value_kind:     hidden_global_offset_x
      - .offset:         104
        .size:           8
        .value_kind:     hidden_global_offset_y
      - .offset:         112
        .size:           8
        .value_kind:     hidden_global_offset_z
      - .offset:         120
        .size:           2
        .value_kind:     hidden_grid_dims
    .group_segment_fixed_size: 40960
    .kernarg_segment_align: 8
    .kernarg_segment_size: 312
    .language:       OpenCL C
    .language_version:
      - 2
      - 0
    .max_flat_workgroup_size: 256
    .name:           _ZN9rocsparseL34gtsv_nopivot_cr_pow2_stage2_kernelILj256E21rocsparse_complex_numIdEEEviiiPKT0_S5_S5_S5_PS3_
    .private_segment_fixed_size: 0
    .sgpr_count:     20
    .sgpr_spill_count: 0
    .symbol:         _ZN9rocsparseL34gtsv_nopivot_cr_pow2_stage2_kernelILj256E21rocsparse_complex_numIdEEEviiiPKT0_S5_S5_S5_PS3_.kd
    .uniform_work_group_size: 1
    .uses_dynamic_stack: false
    .vgpr_count:     69
    .vgpr_spill_count: 0
    .wavefront_size: 64
  - .args:
      - .offset:         0
        .size:           4
        .value_kind:     by_value
      - .offset:         4
        .size:           4
        .value_kind:     by_value
      - .offset:         8
        .size:           4
        .value_kind:     by_value
      - .offset:         12
        .size:           4
        .value_kind:     by_value
      - .actual_access:  read_only
        .address_space:  global
        .offset:         16
        .size:           8
        .value_kind:     global_buffer
      - .actual_access:  read_only
        .address_space:  global
        .offset:         24
        .size:           8
        .value_kind:     global_buffer
      - .actual_access:  read_only
        .address_space:  global
        .offset:         32
        .size:           8
        .value_kind:     global_buffer
      - .actual_access:  read_only
        .address_space:  global
        .offset:         40
        .size:           8
        .value_kind:     global_buffer
      - .actual_access:  write_only
        .address_space:  global
        .offset:         48
        .size:           8
        .value_kind:     global_buffer
      - .actual_access:  write_only
        .address_space:  global
        .offset:         56
        .size:           8
        .value_kind:     global_buffer
      - .actual_access:  write_only
        .address_space:  global
        .offset:         64
        .size:           8
        .value_kind:     global_buffer
      - .actual_access:  write_only
        .address_space:  global
        .offset:         72
        .size:           8
        .value_kind:     global_buffer
    .group_segment_fixed_size: 0
    .kernarg_segment_align: 8
    .kernarg_segment_size: 80
    .language:       OpenCL C
    .language_version:
      - 2
      - 0
    .max_flat_workgroup_size: 256
    .name:           _ZN9rocsparseL32gtsv_nopivot_pcr_stage1_n_kernelILj256E21rocsparse_complex_numIdEEEviiiiPKT0_S5_S5_S5_PS3_S6_S6_S6_
    .private_segment_fixed_size: 0
    .sgpr_count:     22
    .sgpr_spill_count: 0
    .symbol:         _ZN9rocsparseL32gtsv_nopivot_pcr_stage1_n_kernelILj256E21rocsparse_complex_numIdEEEviiiiPKT0_S5_S5_S5_PS3_S6_S6_S6_.kd
    .uniform_work_group_size: 1
    .uses_dynamic_stack: false
    .vgpr_count:     36
    .vgpr_spill_count: 0
    .wavefront_size: 64
  - .args:
      - .offset:         0
        .size:           4
        .value_kind:     by_value
      - .offset:         4
        .size:           4
        .value_kind:     by_value
      - .offset:         8
        .size:           4
        .value_kind:     by_value
      - .actual_access:  read_only
        .address_space:  global
        .offset:         16
        .size:           8
        .value_kind:     global_buffer
      - .actual_access:  read_only
        .address_space:  global
        .offset:         24
        .size:           8
        .value_kind:     global_buffer
      - .actual_access:  read_only
        .address_space:  global
        .offset:         32
        .size:           8
        .value_kind:     global_buffer
      - .actual_access:  read_only
        .address_space:  global
        .offset:         40
        .size:           8
        .value_kind:     global_buffer
      - .actual_access:  write_only
        .address_space:  global
        .offset:         48
        .size:           8
        .value_kind:     global_buffer
      - .offset:         56
        .size:           4
        .value_kind:     hidden_block_count_x
      - .offset:         60
        .size:           4
        .value_kind:     hidden_block_count_y
      - .offset:         64
        .size:           4
        .value_kind:     hidden_block_count_z
      - .offset:         68
        .size:           2
        .value_kind:     hidden_group_size_x
      - .offset:         70
        .size:           2
        .value_kind:     hidden_group_size_y
      - .offset:         72
        .size:           2
        .value_kind:     hidden_group_size_z
      - .offset:         74
        .size:           2
        .value_kind:     hidden_remainder_x
      - .offset:         76
        .size:           2
        .value_kind:     hidden_remainder_y
      - .offset:         78
        .size:           2
        .value_kind:     hidden_remainder_z
      - .offset:         96
        .size:           8
        .value_kind:     hidden_global_offset_x
      - .offset:         104
        .size:           8
        .value_kind:     hidden_global_offset_y
      - .offset:         112
        .size:           8
        .value_kind:     hidden_global_offset_z
      - .offset:         120
        .size:           2
        .value_kind:     hidden_grid_dims
    .group_segment_fixed_size: 40960
    .kernarg_segment_align: 8
    .kernarg_segment_size: 312
    .language:       OpenCL C
    .language_version:
      - 2
      - 0
    .max_flat_workgroup_size: 512
    .name:           _ZN9rocsparseL30gtsv_nopivot_pcr_stage2_kernelILj512E21rocsparse_complex_numIdEEEviiiPKT0_S5_S5_S5_PS3_
    .private_segment_fixed_size: 0
    .sgpr_count:     22
    .sgpr_spill_count: 0
    .symbol:         _ZN9rocsparseL30gtsv_nopivot_pcr_stage2_kernelILj512E21rocsparse_complex_numIdEEEviiiPKT0_S5_S5_S5_PS3_.kd
    .uniform_work_group_size: 1
    .uses_dynamic_stack: false
    .vgpr_count:     68
    .vgpr_spill_count: 0
    .wavefront_size: 64
  - .args:
      - .offset:         0
        .size:           4
        .value_kind:     by_value
      - .offset:         4
        .size:           4
        .value_kind:     by_value
      - .offset:         8
        .size:           4
        .value_kind:     by_value
      - .offset:         12
        .size:           4
        .value_kind:     by_value
      - .actual_access:  read_only
        .address_space:  global
        .offset:         16
        .size:           8
        .value_kind:     global_buffer
      - .actual_access:  read_only
        .address_space:  global
        .offset:         24
        .size:           8
        .value_kind:     global_buffer
      - .actual_access:  read_only
        .address_space:  global
        .offset:         32
        .size:           8
        .value_kind:     global_buffer
      - .actual_access:  read_only
        .address_space:  global
        .offset:         40
        .size:           8
        .value_kind:     global_buffer
      - .actual_access:  write_only
        .address_space:  global
        .offset:         48
        .size:           8
        .value_kind:     global_buffer
      - .actual_access:  write_only
        .address_space:  global
        .offset:         56
        .size:           8
        .value_kind:     global_buffer
      - .actual_access:  write_only
        .address_space:  global
        .offset:         64
        .size:           8
        .value_kind:     global_buffer
      - .actual_access:  write_only
        .address_space:  global
        .offset:         72
        .size:           8
        .value_kind:     global_buffer
    .group_segment_fixed_size: 0
    .kernarg_segment_align: 8
    .kernarg_segment_size: 80
    .language:       OpenCL C
    .language_version:
      - 2
      - 0
    .max_flat_workgroup_size: 256
    .name:           _ZN9rocsparseL35gtsv_nopivot_pcr_pow2_stage1_kernelILj256E21rocsparse_complex_numIdEEEviiiiPKT0_S5_S5_S5_PS3_S6_S6_S6_
    .private_segment_fixed_size: 0
    .sgpr_count:     24
    .sgpr_spill_count: 0
    .symbol:         _ZN9rocsparseL35gtsv_nopivot_pcr_pow2_stage1_kernelILj256E21rocsparse_complex_numIdEEEviiiiPKT0_S5_S5_S5_PS3_S6_S6_S6_.kd
    .uniform_work_group_size: 1
    .uses_dynamic_stack: false
    .vgpr_count:     35
    .vgpr_spill_count: 0
    .wavefront_size: 64
  - .args:
      - .offset:         0
        .size:           4
        .value_kind:     by_value
      - .offset:         4
        .size:           4
        .value_kind:     by_value
      - .offset:         8
        .size:           4
        .value_kind:     by_value
      - .offset:         12
        .size:           4
        .value_kind:     by_value
      - .actual_access:  read_only
        .address_space:  global
        .offset:         16
        .size:           8
        .value_kind:     global_buffer
      - .actual_access:  read_only
        .address_space:  global
        .offset:         24
        .size:           8
        .value_kind:     global_buffer
      - .actual_access:  read_only
        .address_space:  global
        .offset:         32
        .size:           8
        .value_kind:     global_buffer
      - .actual_access:  read_only
        .address_space:  global
        .offset:         40
        .size:           8
        .value_kind:     global_buffer
      - .actual_access:  read_only
        .address_space:  global
        .offset:         48
        .size:           8
        .value_kind:     global_buffer
      - .actual_access:  read_only
        .address_space:  global
        .offset:         56
        .size:           8
        .value_kind:     global_buffer
      - .address_space:  global
        .offset:         64
        .size:           8
        .value_kind:     global_buffer
      - .address_space:  global
        .offset:         72
        .size:           8
        .value_kind:     global_buffer
      - .address_space:  global
        .offset:         80
        .size:           8
        .value_kind:     global_buffer
    .group_segment_fixed_size: 0
    .kernarg_segment_align: 8
    .kernarg_segment_size: 88
    .language:       OpenCL C
    .language_version:
      - 2
      - 0
    .max_flat_workgroup_size: 256
    .name:           _ZN9rocsparseL38gtsv_nopivot_thomas_pow2_stage2_kernelILj256ELj512E21rocsparse_complex_numIdEEEviiiiPKT1_S5_S5_S5_PS3_S6_S6_S6_S6_
    .private_segment_fixed_size: 0
    .sgpr_count:     32
    .sgpr_spill_count: 0
    .symbol:         _ZN9rocsparseL38gtsv_nopivot_thomas_pow2_stage2_kernelILj256ELj512E21rocsparse_complex_numIdEEEviiiiPKT1_S5_S5_S5_PS3_S6_S6_S6_S6_.kd
    .uniform_work_group_size: 1
    .uses_dynamic_stack: false
    .vgpr_count:     30
    .vgpr_spill_count: 0
    .wavefront_size: 64
  - .args:
      - .offset:         0
        .size:           4
        .value_kind:     by_value
      - .offset:         4
        .size:           4
        .value_kind:     by_value
      - .offset:         8
        .size:           4
        .value_kind:     by_value
      - .offset:         12
        .size:           4
        .value_kind:     by_value
      - .actual_access:  read_only
        .address_space:  global
        .offset:         16
        .size:           8
        .value_kind:     global_buffer
      - .actual_access:  read_only
        .address_space:  global
        .offset:         24
        .size:           8
        .value_kind:     global_buffer
      - .actual_access:  read_only
        .address_space:  global
        .offset:         32
        .size:           8
        .value_kind:     global_buffer
      - .actual_access:  read_only
        .address_space:  global
        .offset:         40
        .size:           8
        .value_kind:     global_buffer
      - .actual_access:  write_only
        .address_space:  global
        .offset:         48
        .size:           8
        .value_kind:     global_buffer
      - .actual_access:  write_only
        .address_space:  global
        .offset:         56
        .size:           8
        .value_kind:     global_buffer
      - .actual_access:  write_only
        .address_space:  global
        .offset:         64
        .size:           8
        .value_kind:     global_buffer
      - .actual_access:  write_only
        .address_space:  global
        .offset:         72
        .size:           8
        .value_kind:     global_buffer
    .group_segment_fixed_size: 0
    .kernarg_segment_align: 8
    .kernarg_segment_size: 80
    .language:       OpenCL C
    .language_version:
      - 2
      - 0
    .max_flat_workgroup_size: 256
    .name:           _ZN9rocsparseL30gtsv_nopivot_pcr_stage1_kernelILj256E21rocsparse_complex_numIdEEEviiiiPKT0_S5_S5_S5_PS3_S6_S6_S6_
    .private_segment_fixed_size: 0
    .sgpr_count:     22
    .sgpr_spill_count: 0
    .symbol:         _ZN9rocsparseL30gtsv_nopivot_pcr_stage1_kernelILj256E21rocsparse_complex_numIdEEEviiiiPKT0_S5_S5_S5_PS3_S6_S6_S6_.kd
    .uniform_work_group_size: 1
    .uses_dynamic_stack: false
    .vgpr_count:     31
    .vgpr_spill_count: 0
    .wavefront_size: 64
  - .args:
      - .offset:         0
        .size:           4
        .value_kind:     by_value
      - .offset:         4
        .size:           4
        .value_kind:     by_value
      - .offset:         8
        .size:           4
        .value_kind:     by_value
      - .offset:         12
        .size:           4
        .value_kind:     by_value
      - .actual_access:  read_only
        .address_space:  global
        .offset:         16
        .size:           8
        .value_kind:     global_buffer
      - .actual_access:  read_only
        .address_space:  global
        .offset:         24
        .size:           8
        .value_kind:     global_buffer
      - .actual_access:  read_only
        .address_space:  global
        .offset:         32
        .size:           8
        .value_kind:     global_buffer
      - .actual_access:  read_only
        .address_space:  global
        .offset:         40
        .size:           8
        .value_kind:     global_buffer
      - .actual_access:  read_only
        .address_space:  global
        .offset:         48
        .size:           8
        .value_kind:     global_buffer
      - .actual_access:  read_only
        .address_space:  global
        .offset:         56
        .size:           8
        .value_kind:     global_buffer
      - .address_space:  global
        .offset:         64
        .size:           8
        .value_kind:     global_buffer
      - .address_space:  global
        .offset:         72
        .size:           8
        .value_kind:     global_buffer
      - .address_space:  global
        .offset:         80
        .size:           8
        .value_kind:     global_buffer
    .group_segment_fixed_size: 0
    .kernarg_segment_align: 8
    .kernarg_segment_size: 88
    .language:       OpenCL C
    .language_version:
      - 2
      - 0
    .max_flat_workgroup_size: 256
    .name:           _ZN9rocsparseL33gtsv_nopivot_thomas_stage2_kernelILj256E21rocsparse_complex_numIdEEEviiiiPKT0_S5_S5_S5_PS3_S6_S6_S6_S6_
    .private_segment_fixed_size: 0
    .sgpr_count:     30
    .sgpr_spill_count: 0
    .symbol:         _ZN9rocsparseL33gtsv_nopivot_thomas_stage2_kernelILj256E21rocsparse_complex_numIdEEEviiiiPKT0_S5_S5_S5_PS3_S6_S6_S6_S6_.kd
    .uniform_work_group_size: 1
    .uses_dynamic_stack: false
    .vgpr_count:     38
    .vgpr_spill_count: 0
    .wavefront_size: 64
amdhsa.target:   amdgcn-amd-amdhsa--gfx906
amdhsa.version:
  - 1
  - 2
...

	.end_amdgpu_metadata
